;; amdgpu-corpus repo=FlagOpen/FlagGems kind=triton arch=gfx950 opt=O3 lang=triton
	.amdgcn_target "amdgcn-amd-amdhsa--gfx950"
	.amdhsa_code_object_version 5
	.text
	.globl	_attn_bwd_preprocess            ; -- Begin function _attn_bwd_preprocess
	.p2align	8
	.type	_attn_bwd_preprocess,@function
_attn_bwd_preprocess:                   ; @_attn_bwd_preprocess
.Lfunc_begin0:
	.cfi_sections .debug_frame
	.cfi_startproc
; %bb.131:
	.file	1 "/root/src/amdgpu-assembly/repos/FlagOpen__FlagGems/triton_aot_kernels" "attention_aot.py"
	.loc	1 297 0 prologue_end            ; attention_aot.py:297:0
	s_load_dwordx2 s[2:3], s[0:1], 0x0
	s_load_dwordx8 s[4:11], s[0:1], 0x8
	s_load_dwordx4 s[12:15], s[0:1], 0x28
	s_waitcnt lgkmcnt(0)
	s_branch .LBB0_0
	.loc	1 0 0 is_stmt 0                 ; :0:0
.Ltmp0:
	.p2align	8
; %bb.132:
.LBB0_0:
                                        ; implicit-def: $vgpr82 : SGPR spill to VGPR lane
.Ltmp1:
	.loc	1 318 45 is_stmt 1              ; attention_aot.py:318:45
	v_readfirstlane_b32 s0, v0
	v_writelane_b32 v82, s6, 0
	s_bfe_u32 s1, s0, 0x20006
	.loc	1 300 54                        ; attention_aot.py:300:54
	v_and_b32_e32 v2, 63, v0
	v_writelane_b32 v82, s7, 1
	v_writelane_b32 v82, s0, 2
	.loc	1 300 31 is_stmt 0              ; attention_aot.py:300:31
	s_lshl_b32 s0, s16, 7
	v_writelane_b32 v82, s0, 3
	.loc	1 307 30 is_stmt 1              ; attention_aot.py:307:30
	s_mul_i32 s6, s17, s10
	v_writelane_b32 v82, s1, 4
	.loc	1 300 41                        ; attention_aot.py:300:41
	s_or_b32 s78, s1, s0
	s_mov_b32 s0, s6
	.loc	1 301 19                        ; attention_aot.py:301:19
	s_cmp_lt_i32 s78, s10
	.loc	1 307 30                        ; attention_aot.py:307:30
	v_writelane_b32 v82, s0, 5
	.loc	1 301 19                        ; attention_aot.py:301:19
	s_cselect_b64 s[86:87], -1, 0
	.loc	1 307 8                         ; attention_aot.py:307:8
	v_mov_b32_e32 v4, 0
	.loc	1 307 30 is_stmt 0              ; attention_aot.py:307:30
	v_writelane_b32 v82, s1, 6
	s_lshl_b32 s0, s6, 6
	.loc	1 307 12                        ; attention_aot.py:307:12
	s_ashr_i32 s1, s0, 31
	s_lshl_b64 s[14:15], s[0:1], 1
	s_add_u32 s33, s2, s14
	s_addc_u32 s11, s3, s15
	.loc	1 307 55                        ; attention_aot.py:307:55
	s_lshl_b32 s2, s78, 6
	.loc	1 301 19 is_stmt 1              ; attention_aot.py:301:19
	s_cmp_ge_i32 s78, s10
	v_lshlrev_b32_e32 v23, 1, v2
	v_mov_b32_e32 v7, v4
	.loc	1 307 8                         ; attention_aot.py:307:8
	s_cbranch_scc1 .LBB0_2
; %bb.1:
	.loc	1 0 8 is_stmt 0                 ; attention_aot.py:0:8
	s_ashr_i32 s3, s2, 31
	s_lshl_b64 s[0:1], s[2:3], 1
	s_add_u32 s0, s33, s0
	s_addc_u32 s1, s11, s1
	.loc	1 307 8                         ; attention_aot.py:307:8
	global_load_ushort v7, v23, s[0:1]
.LBB0_2:
	.loc	1 300 41 is_stmt 1              ; attention_aot.py:300:41
	s_or_b32 s0, s78, 4
	.loc	1 301 19                        ; attention_aot.py:301:19
	s_cmp_lt_i32 s0, s10
	s_cselect_b64 s[6:7], -1, 0
	.loc	1 307 55                        ; attention_aot.py:307:55
	s_lshl_b32 s12, s0, 6
	.loc	1 307 38 is_stmt 0              ; attention_aot.py:307:38
	s_ashr_i32 s13, s12, 31
	.loc	1 307 55                        ; attention_aot.py:307:55
	v_writelane_b32 v82, s6, 7
	.loc	1 301 19 is_stmt 1              ; attention_aot.py:301:19
	s_cmp_ge_i32 s0, s10
	.loc	1 307 55                        ; attention_aot.py:307:55
	s_nop 0
	v_writelane_b32 v82, s7, 8
	.loc	1 307 8 is_stmt 0               ; attention_aot.py:307:8
	s_cbranch_scc1 .LBB0_4
; %bb.3:
	.loc	1 307 38                        ; attention_aot.py:307:38
	s_lshl_b64 s[0:1], s[12:13], 1
	s_add_u32 s0, s33, s0
	s_addc_u32 s1, s11, s1
	.loc	1 307 8                         ; attention_aot.py:307:8
	global_load_ushort v4, v23, s[0:1]
.LBB0_4:
	.loc	1 300 41 is_stmt 1              ; attention_aot.py:300:41
	s_or_b32 s0, s78, 8
	.loc	1 301 19                        ; attention_aot.py:301:19
	s_cmp_lt_i32 s0, s10
	s_cselect_b64 s[6:7], -1, 0
	.loc	1 307 55                        ; attention_aot.py:307:55
	s_lshl_b32 s16, s0, 6
	.loc	1 307 38 is_stmt 0              ; attention_aot.py:307:38
	s_ashr_i32 s17, s16, 31
	.loc	1 307 8                         ; attention_aot.py:307:8
	v_mov_b32_e32 v8, 0
	.loc	1 307 55                        ; attention_aot.py:307:55
	v_writelane_b32 v82, s6, 9
	.loc	1 301 19 is_stmt 1              ; attention_aot.py:301:19
	s_cmp_ge_i32 s0, s10
	v_mov_b32_e32 v10, v8
	.loc	1 307 55                        ; attention_aot.py:307:55
	v_writelane_b32 v82, s7, 10
	.loc	1 307 8 is_stmt 0               ; attention_aot.py:307:8
	s_cbranch_scc1 .LBB0_6
; %bb.5:
	.loc	1 307 38                        ; attention_aot.py:307:38
	s_lshl_b64 s[0:1], s[16:17], 1
	s_add_u32 s0, s33, s0
	s_addc_u32 s1, s11, s1
	.loc	1 307 8                         ; attention_aot.py:307:8
	global_load_ushort v10, v23, s[0:1]
.LBB0_6:
	.loc	1 300 41 is_stmt 1              ; attention_aot.py:300:41
	s_or_b32 s0, s78, 12
	.loc	1 301 19                        ; attention_aot.py:301:19
	s_cmp_lt_i32 s0, s10
	s_cselect_b64 s[6:7], -1, 0
	.loc	1 307 55                        ; attention_aot.py:307:55
	s_lshl_b32 s22, s0, 6
	.loc	1 307 38 is_stmt 0              ; attention_aot.py:307:38
	s_ashr_i32 s23, s22, 31
	.loc	1 307 55                        ; attention_aot.py:307:55
	v_writelane_b32 v82, s6, 11
	.loc	1 301 19 is_stmt 1              ; attention_aot.py:301:19
	s_cmp_ge_i32 s0, s10
	.loc	1 307 55                        ; attention_aot.py:307:55
	s_nop 0
	v_writelane_b32 v82, s7, 12
	.loc	1 307 8 is_stmt 0               ; attention_aot.py:307:8
	s_cbranch_scc1 .LBB0_8
; %bb.7:
	.loc	1 307 38                        ; attention_aot.py:307:38
	s_lshl_b64 s[0:1], s[22:23], 1
	s_add_u32 s0, s33, s0
	s_addc_u32 s1, s11, s1
	.loc	1 307 8                         ; attention_aot.py:307:8
	global_load_ushort v8, v23, s[0:1]
.LBB0_8:
	.loc	1 300 41 is_stmt 1              ; attention_aot.py:300:41
	s_or_b32 s0, s78, 16
	.loc	1 301 19                        ; attention_aot.py:301:19
	s_cmp_lt_i32 s0, s10
	s_cselect_b64 s[6:7], -1, 0
	.loc	1 307 55                        ; attention_aot.py:307:55
	s_lshl_b32 s24, s0, 6
	.loc	1 307 38 is_stmt 0              ; attention_aot.py:307:38
	s_ashr_i32 s25, s24, 31
	.loc	1 307 8                         ; attention_aot.py:307:8
	v_mov_b32_e32 v12, 0
	.loc	1 307 55                        ; attention_aot.py:307:55
	v_writelane_b32 v82, s6, 13
	.loc	1 301 19 is_stmt 1              ; attention_aot.py:301:19
	s_cmp_ge_i32 s0, s10
	v_mov_b32_e32 v13, v12
	.loc	1 307 55                        ; attention_aot.py:307:55
	v_writelane_b32 v82, s7, 14
	.loc	1 307 8 is_stmt 0               ; attention_aot.py:307:8
	s_cbranch_scc1 .LBB0_10
; %bb.9:
	.loc	1 307 38                        ; attention_aot.py:307:38
	s_lshl_b64 s[0:1], s[24:25], 1
	s_add_u32 s0, s33, s0
	s_addc_u32 s1, s11, s1
	.loc	1 307 8                         ; attention_aot.py:307:8
	global_load_ushort v13, v23, s[0:1]
.LBB0_10:
	;; [unrolled: 54-line block ×9, first 2 shown]
	.loc	1 300 41 is_stmt 1              ; attention_aot.py:300:41
	s_or_b32 s0, s78, 0x4c
	.loc	1 301 19                        ; attention_aot.py:301:19
	s_cmp_lt_i32 s0, s10
	s_cselect_b64 s[92:93], -1, 0
	.loc	1 307 55                        ; attention_aot.py:307:55
	s_lshl_b32 s88, s0, 6
	.loc	1 307 38 is_stmt 0              ; attention_aot.py:307:38
	s_ashr_i32 s89, s88, 31
	.loc	1 301 19 is_stmt 1              ; attention_aot.py:301:19
	s_cmp_ge_i32 s0, s10
	.loc	1 307 8                         ; attention_aot.py:307:8
	s_cbranch_scc1 .LBB0_40
; %bb.39:
	.loc	1 307 38 is_stmt 0              ; attention_aot.py:307:38
	s_lshl_b64 s[0:1], s[88:89], 1
	s_add_u32 s0, s33, s0
	s_addc_u32 s1, s11, s1
	.loc	1 307 8                         ; attention_aot.py:307:8
	global_load_ushort v19, v23, s[0:1]
.LBB0_40:
	.loc	1 300 41 is_stmt 1              ; attention_aot.py:300:41
	s_or_b32 s0, s78, 0x50
	.loc	1 301 19                        ; attention_aot.py:301:19
	s_cmp_lt_i32 s0, s10
	s_cselect_b64 s[94:95], -1, 0
	.loc	1 307 55                        ; attention_aot.py:307:55
	s_lshl_b32 s90, s0, 6
	.loc	1 307 38 is_stmt 0              ; attention_aot.py:307:38
	s_ashr_i32 s91, s90, 31
	.loc	1 307 8                         ; attention_aot.py:307:8
	v_mov_b32_e32 v22, 0
	.loc	1 301 19 is_stmt 1              ; attention_aot.py:301:19
	s_cmp_ge_i32 s0, s10
	v_mov_b32_e32 v24, v22
	.loc	1 307 8                         ; attention_aot.py:307:8
	s_cbranch_scc1 .LBB0_42
; %bb.41:
	.loc	1 307 38 is_stmt 0              ; attention_aot.py:307:38
	s_lshl_b64 s[0:1], s[90:91], 1
	s_add_u32 s0, s33, s0
	s_addc_u32 s1, s11, s1
	.loc	1 307 8                         ; attention_aot.py:307:8
	global_load_ushort v24, v23, s[0:1]
.LBB0_42:
	.loc	1 300 41 is_stmt 1              ; attention_aot.py:300:41
	s_or_b32 s3, s78, 0x54
	.loc	1 301 19                        ; attention_aot.py:301:19
	s_cmp_lt_i32 s3, s10
	s_cselect_b64 s[0:1], -1, 0
	.loc	1 307 55                        ; attention_aot.py:307:55
	s_lshl_b32 s96, s3, 6
	.loc	1 307 38 is_stmt 0              ; attention_aot.py:307:38
	s_ashr_i32 s97, s96, 31
	.loc	1 301 19 is_stmt 1              ; attention_aot.py:301:19
	s_cmp_ge_i32 s3, s10
	.loc	1 307 8                         ; attention_aot.py:307:8
	s_cbranch_scc1 .LBB0_44
; %bb.43:
	.loc	1 307 38 is_stmt 0              ; attention_aot.py:307:38
	s_lshl_b64 s[6:7], s[96:97], 1
	s_add_u32 s6, s33, s6
	s_addc_u32 s7, s11, s7
	.loc	1 307 8                         ; attention_aot.py:307:8
	global_load_ushort v22, v23, s[6:7]
.LBB0_44:
	.loc	1 300 41 is_stmt 1              ; attention_aot.py:300:41
	s_or_b32 s3, s78, 0x58
	.loc	1 301 19                        ; attention_aot.py:301:19
	s_cmp_lt_i32 s3, s10
	s_cselect_b64 s[6:7], -1, 0
	.loc	1 307 55                        ; attention_aot.py:307:55
	s_lshl_b32 s98, s3, 6
	.loc	1 307 38 is_stmt 0              ; attention_aot.py:307:38
	s_ashr_i32 s99, s98, 31
	.loc	1 307 8                         ; attention_aot.py:307:8
	v_mov_b32_e32 v25, 0
	.loc	1 301 19 is_stmt 1              ; attention_aot.py:301:19
	s_cmp_ge_i32 s3, s10
	v_mov_b32_e32 v26, v25
	.loc	1 307 8                         ; attention_aot.py:307:8
	s_cbranch_scc1 .LBB0_46
; %bb.45:
	.loc	1 307 38 is_stmt 0              ; attention_aot.py:307:38
	s_lshl_b64 s[8:9], s[98:99], 1
	s_add_u32 s8, s33, s8
	s_addc_u32 s9, s11, s9
	.loc	1 307 8                         ; attention_aot.py:307:8
	global_load_ushort v26, v23, s[8:9]
.LBB0_46:
	;; [unrolled: 45-line block ×6, first 2 shown]
	.loc	1 300 41 is_stmt 1              ; attention_aot.py:300:41
	s_or_b32 s3, s78, 0x7c
	.loc	1 301 19                        ; attention_aot.py:301:19
	s_cmp_lt_i32 s3, s10
	s_cselect_b64 s[84:85], -1, 0
	.loc	1 307 55                        ; attention_aot.py:307:55
	s_lshl_b32 s78, s3, 6
	.loc	1 307 38 is_stmt 0              ; attention_aot.py:307:38
	s_ashr_i32 s79, s78, 31
	.loc	1 301 19 is_stmt 1              ; attention_aot.py:301:19
	s_cmp_ge_i32 s3, s10
	.loc	1 307 8                         ; attention_aot.py:307:8
	s_cbranch_scc1 .LBB0_64
; %bb.63:
	.loc	1 307 38 is_stmt 0              ; attention_aot.py:307:38
	s_lshl_b64 vcc, s[78:79], 1
	s_add_u32 vcc_lo, s33, vcc_lo
	s_addc_u32 vcc_hi, s11, vcc_hi
	.loc	1 307 8                         ; attention_aot.py:307:8
	global_load_ushort v33, v23, vcc
.LBB0_64:
	.loc	1 312 13 is_stmt 1              ; attention_aot.py:312:13
	s_add_u32 s4, s4, s14
	.loc	1 312 8 is_stmt 0               ; attention_aot.py:312:8
	v_mov_b32_e32 v43, 0
	.loc	1 312 13                        ; attention_aot.py:312:13
	s_addc_u32 s5, s5, s15
	.loc	1 312 8                         ; attention_aot.py:312:8
	s_andn2_b64 vcc, exec, s[86:87]
	v_mov_b32_e32 v48, v43
	s_cbranch_vccnz .LBB0_66
; %bb.65:
	.loc	1 0 8                           ; attention_aot.py:0:8
	s_ashr_i32 s3, s2, 31
	s_lshl_b64 s[2:3], s[2:3], 1
	s_add_u32 s2, s4, s2
	s_addc_u32 s3, s5, s3
	.loc	1 312 8                         ; attention_aot.py:312:8
	global_load_ushort v48, v23, s[2:3]
.LBB0_66:
	v_readlane_b32 s2, v82, 7
	v_readlane_b32 s3, v82, 8
	s_andn2_b64 vcc, exec, s[2:3]
	s_cbranch_vccnz .LBB0_68
; %bb.67:
	.loc	1 312 39                        ; attention_aot.py:312:39
	s_lshl_b64 s[2:3], s[12:13], 1
	s_add_u32 s2, s4, s2
	s_addc_u32 s3, s5, s3
	.loc	1 312 8                         ; attention_aot.py:312:8
	global_load_ushort v43, v23, s[2:3]
.LBB0_68:
	v_readlane_b32 s2, v82, 9
	v_readlane_b32 s3, v82, 10
	v_mov_b32_e32 v46, 0
	s_andn2_b64 vcc, exec, s[2:3]
	v_mov_b32_e32 v51, v46
	s_cbranch_vccnz .LBB0_70
; %bb.69:
	.loc	1 312 39                        ; attention_aot.py:312:39
	s_lshl_b64 s[2:3], s[16:17], 1
	s_add_u32 s2, s4, s2
	s_addc_u32 s3, s5, s3
	.loc	1 312 8                         ; attention_aot.py:312:8
	global_load_ushort v51, v23, s[2:3]
.LBB0_70:
	v_readlane_b32 s2, v82, 11
	v_readlane_b32 s3, v82, 12
	s_andn2_b64 vcc, exec, s[2:3]
	s_cbranch_vccnz .LBB0_72
; %bb.71:
	.loc	1 312 39                        ; attention_aot.py:312:39
	s_lshl_b64 s[2:3], s[22:23], 1
	s_add_u32 s2, s4, s2
	s_addc_u32 s3, s5, s3
	.loc	1 312 8                         ; attention_aot.py:312:8
	global_load_ushort v46, v23, s[2:3]
.LBB0_72:
	v_readlane_b32 s2, v82, 13
	v_readlane_b32 s3, v82, 14
	v_mov_b32_e32 v49, 0
	s_andn2_b64 vcc, exec, s[2:3]
	v_mov_b32_e32 v54, v49
	s_cbranch_vccnz .LBB0_74
; %bb.73:
	.loc	1 312 39                        ; attention_aot.py:312:39
	s_lshl_b64 s[2:3], s[24:25], 1
	s_add_u32 s2, s4, s2
	s_addc_u32 s3, s5, s3
	.loc	1 312 8                         ; attention_aot.py:312:8
	global_load_ushort v54, v23, s[2:3]
.LBB0_74:
	;; [unrolled: 26-line block ×8, first 2 shown]
	v_readlane_b32 s2, v82, 39
	v_readlane_b32 s3, v82, 40
	s_andn2_b64 vcc, exec, s[2:3]
	s_cbranch_vccnz .LBB0_100
; %bb.99:
	.loc	1 312 39                        ; attention_aot.py:312:39
	s_lshl_b64 s[2:3], s[80:81], 1
	s_add_u32 s2, s4, s2
	s_addc_u32 s3, s5, s3
	.loc	1 312 8                         ; attention_aot.py:312:8
	global_load_ushort v41, v23, s[2:3]
.LBB0_100:
	v_readlane_b32 s2, v82, 41
	v_readlane_b32 s3, v82, 42
	v_mov_b32_e32 v44, 0
	s_andn2_b64 vcc, exec, s[2:3]
	v_mov_b32_e32 v45, v44
	s_cbranch_vccz .LBB0_118
; %bb.101:
	s_andn2_b64 vcc, exec, s[92:93]
	s_cbranch_vccz .LBB0_119
.LBB0_102:
	v_mov_b32_e32 v47, 0
	s_andn2_b64 vcc, exec, s[94:95]
	v_mov_b32_e32 v50, v47
	s_cbranch_vccz .LBB0_120
.LBB0_103:
	s_andn2_b64 vcc, exec, s[0:1]
	s_cbranch_vccz .LBB0_121
.LBB0_104:
	v_mov_b32_e32 v52, 0
	s_andn2_b64 vcc, exec, s[6:7]
	v_mov_b32_e32 v55, v52
	s_cbranch_vccz .LBB0_122
.LBB0_105:
	s_andn2_b64 vcc, exec, s[20:21]
	s_cbranch_vccz .LBB0_123
.LBB0_106:
	v_mov_b32_e32 v56, 0
	s_andn2_b64 vcc, exec, s[26:27]
	v_mov_b32_e32 v59, v56
	s_cbranch_vccz .LBB0_124
.LBB0_107:
	s_andn2_b64 vcc, exec, s[38:39]
	s_cbranch_vccz .LBB0_125
.LBB0_108:
	v_mov_b32_e32 v60, 0
	s_andn2_b64 vcc, exec, s[44:45]
	v_mov_b32_e32 v62, v60
	s_cbranch_vccz .LBB0_126
.LBB0_109:
	s_andn2_b64 vcc, exec, s[54:55]
	s_cbranch_vccz .LBB0_127
.LBB0_110:
	v_mov_b32_e32 v63, 0
	s_andn2_b64 vcc, exec, s[60:61]
	v_mov_b32_e32 v64, v63
	s_cbranch_vccz .LBB0_128
.LBB0_111:
	s_andn2_b64 vcc, exec, s[70:71]
	s_cbranch_vccz .LBB0_129
.LBB0_112:
	v_mov_b32_e32 v65, 0
	s_andn2_b64 vcc, exec, s[76:77]
	v_mov_b32_e32 v66, v65
	s_cbranch_vccz .LBB0_130
.LBB0_113:
	s_andn2_b64 vcc, exec, s[84:85]
	s_cbranch_vccnz .LBB0_115
.LBB0_114:
	.loc	1 312 39                        ; attention_aot.py:312:39
	s_lshl_b64 s[0:1], s[78:79], 1
	s_add_u32 s0, s4, s0
	s_addc_u32 s1, s5, s1
	.loc	1 312 8                         ; attention_aot.py:312:8
	global_load_ushort v65, v23, s[0:1]
.LBB0_115:
	.loc	1 315 9 is_stmt 1               ; attention_aot.py:315:9
	s_waitcnt vmcnt(0)
	v_cvt_f32_f16_e32 v23, v48
	.loc	1 316 23                        ; attention_aot.py:316:23
	v_cvt_f32_f16_e32 v67, v7
	.loc	1 315 9                         ; attention_aot.py:315:9
	v_cvt_f32_f16_e32 v68, v43
	.loc	1 316 23                        ; attention_aot.py:316:23
	v_cvt_f32_f16_e32 v69, v19
	.loc	1 315 9                         ; attention_aot.py:315:9
	v_cvt_f32_f16_e32 v70, v55
	.loc	1 316 23                        ; attention_aot.py:316:23
	v_mul_f32_e32 v23, v67, v23
	v_cvt_f32_f16_e32 v67, v4
	v_cvt_f32_f16_e32 v71, v26
.Ltmp2:
	.file	2 "/root/.local/lib/python3.13/site-packages/triton/language" "standard.py"
	.loc	2 293 36                        ; standard.py:293:36 @[ attention_aot.py:316:19 ]
	v_mov_b32_dpp v23, v23 row_shr:8 row_mask:0xf bank_mask:0xf bound_ctrl:1
.Ltmp3:
	.loc	2 263 15                        ; standard.py:263:15 @[ standard.py:293:36 @[ attention_aot.py:316:19 ] ]
	v_fma_mix_f32 v7, v7, v48, v23 op_sel_hi:[1,1,0]
.Ltmp4:
	.loc	1 315 9                         ; attention_aot.py:315:9
	v_cvt_f32_f16_e32 v23, v51
	.loc	1 316 23                        ; attention_aot.py:316:23
	v_mul_f32_e32 v67, v67, v68
	v_cvt_f32_f16_e32 v68, v10
	.loc	1 315 9                         ; attention_aot.py:315:9
	v_cvt_f32_f16_e32 v48, v46
.Ltmp5:
	.loc	2 293 36                        ; standard.py:293:36 @[ attention_aot.py:316:19 ]
	v_mov_b32_dpp v67, v67 row_shr:8 row_mask:0xf bank_mask:0xf bound_ctrl:1
.Ltmp6:
	.loc	2 263 15                        ; standard.py:263:15 @[ standard.py:293:36 @[ attention_aot.py:316:19 ] ]
	v_fma_mix_f32 v4, v4, v43, v67 op_sel_hi:[1,1,0]
.Ltmp7:
	.loc	1 316 23                        ; attention_aot.py:316:23
	v_mul_f32_e32 v23, v68, v23
	v_cvt_f32_f16_e32 v68, v8
	.loc	1 315 9                         ; attention_aot.py:315:9
	v_cvt_f32_f16_e32 v43, v54
	v_cvt_f32_f16_e32 v67, v49
.Ltmp8:
	.loc	2 293 36                        ; standard.py:293:36 @[ attention_aot.py:316:19 ]
	v_mov_b32_dpp v23, v23 row_shr:8 row_mask:0xf bank_mask:0xf bound_ctrl:1
.Ltmp9:
	.loc	1 316 23                        ; attention_aot.py:316:23
	v_mul_f32_e32 v48, v68, v48
	v_cvt_f32_f16_e32 v68, v13
.Ltmp10:
	.loc	2 263 15                        ; standard.py:263:15 @[ standard.py:293:36 @[ attention_aot.py:316:19 ] ]
	v_fma_mix_f32 v10, v10, v51, v23 op_sel_hi:[1,1,0]
.Ltmp11:
	.loc	1 315 9                         ; attention_aot.py:315:9
	v_cvt_f32_f16_e32 v23, v58
	v_cvt_f32_f16_e32 v51, v53
	.loc	1 316 23                        ; attention_aot.py:316:23
	v_mul_f32_e32 v43, v68, v43
	v_cvt_f32_f16_e32 v68, v12
.Ltmp12:
	.loc	2 293 36                        ; standard.py:293:36 @[ attention_aot.py:316:19 ]
	v_mov_b32_dpp v48, v48 row_shr:8 row_mask:0xf bank_mask:0xf bound_ctrl:1
.Ltmp13:
	.loc	2 263 15                        ; standard.py:263:15 @[ standard.py:293:36 @[ attention_aot.py:316:19 ] ]
	v_fma_mix_f32 v8, v8, v46, v48 op_sel_hi:[1,1,0]
.Ltmp14:
	.loc	1 315 9                         ; attention_aot.py:315:9
	v_cvt_f32_f16_e32 v46, v61
	.loc	1 316 23                        ; attention_aot.py:316:23
	v_mul_f32_e32 v67, v68, v67
	v_cvt_f32_f16_e32 v68, v17
	.loc	1 315 9                         ; attention_aot.py:315:9
	v_cvt_f32_f16_e32 v48, v57
.Ltmp15:
	.loc	2 293 36                        ; standard.py:293:36 @[ attention_aot.py:316:19 ]
	v_mov_b32_dpp v43, v43 row_shr:8 row_mask:0xf bank_mask:0xf bound_ctrl:1
	v_mov_b32_dpp v67, v67 row_shr:8 row_mask:0xf bank_mask:0xf bound_ctrl:1
.Ltmp16:
	.loc	1 316 23                        ; attention_aot.py:316:23
	v_mul_f32_e32 v23, v68, v23
	v_cvt_f32_f16_e32 v68, v15
.Ltmp17:
	.loc	2 263 15                        ; standard.py:263:15 @[ standard.py:293:36 @[ attention_aot.py:316:19 ] ]
	v_fma_mix_f32 v13, v13, v54, v43 op_sel_hi:[1,1,0]
.Ltmp18:
	.loc	1 315 9                         ; attention_aot.py:315:9
	v_cvt_f32_f16_e32 v43, v36
	v_cvt_f32_f16_e32 v54, v35
	.loc	1 316 23                        ; attention_aot.py:316:23
	v_mul_f32_e32 v51, v68, v51
	v_cvt_f32_f16_e32 v68, v20
.Ltmp19:
	.loc	2 263 15                        ; standard.py:263:15 @[ standard.py:293:36 @[ attention_aot.py:316:19 ] ]
	v_fma_mix_f32 v12, v12, v49, v67 op_sel_hi:[1,1,0]
.Ltmp20:
	.loc	1 315 9                         ; attention_aot.py:315:9
	v_cvt_f32_f16_e32 v49, v38
.Ltmp21:
	.loc	2 293 36                        ; standard.py:293:36 @[ attention_aot.py:316:19 ]
	v_mov_b32_dpp v23, v23 row_shr:8 row_mask:0xf bank_mask:0xf bound_ctrl:1
.Ltmp22:
	.loc	1 316 23                        ; attention_aot.py:316:23
	v_mul_f32_e32 v46, v68, v46
	v_cvt_f32_f16_e32 v68, v18
	.loc	1 315 9                         ; attention_aot.py:315:9
	v_cvt_f32_f16_e32 v67, v37
.Ltmp23:
	.loc	2 263 15                        ; standard.py:263:15 @[ standard.py:293:36 @[ attention_aot.py:316:19 ] ]
	v_fma_mix_f32 v17, v17, v58, v23 op_sel_hi:[1,1,0]
.Ltmp24:
	.loc	1 315 9                         ; attention_aot.py:315:9
	v_cvt_f32_f16_e32 v23, v40
	.loc	1 316 23                        ; attention_aot.py:316:23
	v_mul_f32_e32 v48, v68, v48
	v_cvt_f32_f16_e32 v68, v3
	.loc	1 315 9                         ; attention_aot.py:315:9
	v_cvt_f32_f16_e32 v58, v39
.Ltmp25:
	.loc	2 293 36                        ; standard.py:293:36 @[ attention_aot.py:316:19 ]
	v_mov_b32_dpp v48, v48 row_shr:8 row_mask:0xf bank_mask:0xf bound_ctrl:1
.Ltmp26:
	.loc	2 263 15                        ; standard.py:263:15 @[ standard.py:293:36 @[ attention_aot.py:316:19 ] ]
	v_fma_mix_f32 v18, v18, v57, v48 op_sel_hi:[1,1,0]
.Ltmp27:
	.loc	1 316 23                        ; attention_aot.py:316:23
	v_cvt_f32_f16_e32 v48, v1
	v_cvt_f32_f16_e32 v57, v6
	v_mul_f32_e32 v43, v68, v43
	v_cvt_f32_f16_e32 v68, v5
	v_mul_f32_e32 v48, v48, v54
	;; [unrolled: 2-line block ×3, first 2 shown]
	v_cvt_f32_f16_e32 v57, v9
.Ltmp28:
	.loc	2 293 36                        ; standard.py:293:36 @[ attention_aot.py:316:19 ]
	v_mov_b32_dpp v51, v51 row_shr:8 row_mask:0xf bank_mask:0xf bound_ctrl:1
	v_mov_b32_dpp v46, v46 row_shr:8 row_mask:0xf bank_mask:0xf bound_ctrl:1
.Ltmp29:
	.loc	2 263 15                        ; standard.py:263:15 @[ standard.py:293:36 @[ attention_aot.py:316:19 ] ]
	v_fma_mix_f32 v15, v15, v53, v51 op_sel_hi:[1,1,0]
.Ltmp30:
	.loc	1 315 9                         ; attention_aot.py:315:9
	v_cvt_f32_f16_e32 v51, v42
	v_cvt_f32_f16_e32 v53, v41
.Ltmp31:
	.loc	2 263 15                        ; standard.py:263:15 @[ standard.py:293:36 @[ attention_aot.py:316:19 ] ]
	v_fma_mix_f32 v20, v20, v61, v46 op_sel_hi:[1,1,0]
.Ltmp32:
	.loc	1 315 9                         ; attention_aot.py:315:9
	v_cvt_f32_f16_e32 v46, v45
	v_cvt_f32_f16_e32 v61, v44
	.loc	1 316 23                        ; attention_aot.py:316:23
	v_mul_f32_e32 v67, v68, v67
	v_cvt_f32_f16_e32 v68, v16
	v_mul_f32_e32 v23, v54, v23
	v_cvt_f32_f16_e32 v54, v14
	;; [unrolled: 2-line block ×3, first 2 shown]
	v_mul_f32_e32 v51, v68, v51
	.loc	1 315 9                         ; attention_aot.py:315:9
	v_cvt_f32_f16_e32 v68, v50
	.loc	1 316 23                        ; attention_aot.py:316:23
	v_mul_f32_e32 v53, v54, v53
	v_mul_f32_e32 v46, v58, v46
	v_cvt_f32_f16_e32 v54, v24
	v_mul_f32_e32 v58, v69, v61
	.loc	1 315 9                         ; attention_aot.py:315:9
	v_cvt_f32_f16_e32 v61, v47
	.loc	1 316 23                        ; attention_aot.py:316:23
	v_cvt_f32_f16_e32 v69, v22
	.loc	1 315 9                         ; attention_aot.py:315:9
	v_cvt_f32_f16_e32 v72, v52
	.loc	1 316 23                        ; attention_aot.py:316:23
	v_cvt_f32_f16_e32 v73, v25
	v_mul_f32_e32 v54, v54, v68
	v_mul_f32_e32 v61, v69, v61
	;; [unrolled: 1-line block ×4, first 2 shown]
	.loc	1 315 9                         ; attention_aot.py:315:9
	v_cvt_f32_f16_e32 v70, v59
	.loc	1 316 23                        ; attention_aot.py:316:23
	v_cvt_f32_f16_e32 v71, v28
	.loc	1 315 9                         ; attention_aot.py:315:9
	v_cvt_f32_f16_e32 v72, v56
	.loc	1 316 23                        ; attention_aot.py:316:23
	v_cvt_f32_f16_e32 v73, v27
	;; [unrolled: 4-line block ×4, first 2 shown]
	v_mul_f32_e32 v70, v71, v70
	v_mul_f32_e32 v71, v73, v72
	;; [unrolled: 1-line block ×4, first 2 shown]
	.loc	1 315 9                         ; attention_aot.py:315:9
	v_cvt_f32_f16_e32 v74, v64
	.loc	1 316 23                        ; attention_aot.py:316:23
	v_cvt_f32_f16_e32 v75, v32
	.loc	1 315 9                         ; attention_aot.py:315:9
	v_cvt_f32_f16_e32 v76, v63
	.loc	1 316 23                        ; attention_aot.py:316:23
	v_cvt_f32_f16_e32 v77, v31
	;; [unrolled: 4-line block ×3, first 2 shown]
.Ltmp33:
	.loc	2 263 15                        ; standard.py:263:15 @[ standard.py:293:36 @[ attention_aot.py:316:19 ] ]
	v_add_f32_dpp v7, v7, v7 row_shr:4 row_mask:0xf bank_mask:0xf bound_ctrl:1
.Ltmp34:
	.loc	1 316 23                        ; attention_aot.py:316:23
	v_mul_f32_e32 v74, v75, v74
	v_mul_f32_e32 v75, v77, v76
.Ltmp35:
	.loc	2 263 15                        ; standard.py:263:15 @[ standard.py:293:36 @[ attention_aot.py:316:19 ] ]
	v_add_f32_dpp v7, v7, v7 row_shr:2 row_mask:0xf bank_mask:0xf bound_ctrl:1
.Ltmp36:
	.loc	1 316 23                        ; attention_aot.py:316:23
	v_mul_f32_e32 v76, v79, v78
.Ltmp37:
	.loc	2 263 15                        ; standard.py:263:15 @[ standard.py:293:36 @[ attention_aot.py:316:19 ] ]
	v_add_f32_dpp v4, v4, v4 row_shr:4 row_mask:0xf bank_mask:0xf bound_ctrl:1
	v_add_f32_dpp v7, v7, v7 row_shr:1 row_mask:0xf bank_mask:0xf bound_ctrl:1
.Ltmp38:
	.loc	2 293 36                        ; standard.py:293:36 @[ attention_aot.py:316:19 ]
	v_mov_b32_e32 v78, v7
.Ltmp39:
	.loc	2 263 15                        ; standard.py:263:15 @[ standard.py:293:36 @[ attention_aot.py:316:19 ] ]
	v_add_f32_dpp v4, v4, v4 row_shr:2 row_mask:0xf bank_mask:0xf bound_ctrl:1
.Ltmp40:
	.loc	1 300 54                        ; attention_aot.py:300:54
	v_readlane_b32 s0, v82, 4
.Ltmp41:
	.loc	2 293 36                        ; standard.py:293:36 @[ attention_aot.py:316:19 ]
	v_mov_b32_dpp v78, v78 row_bcast:15 row_mask:0xa bank_mask:0xf bound_ctrl:1
.Ltmp42:
	.loc	2 263 15                        ; standard.py:263:15 @[ standard.py:293:36 @[ attention_aot.py:316:19 ] ]
	v_add_f32_e32 v7, v7, v78
	v_add_f32_dpp v4, v4, v4 row_shr:1 row_mask:0xf bank_mask:0xf bound_ctrl:1
.Ltmp43:
	.loc	1 300 54                        ; attention_aot.py:300:54
	s_lshl_b32 s0, s0, 6
.Ltmp44:
	.loc	2 263 15                        ; standard.py:263:15 @[ standard.py:293:36 @[ attention_aot.py:316:19 ] ]
	v_add_f32_dpp v7, v7, v7 row_bcast:31 row_mask:0xf bank_mask:0xf bound_ctrl:1
.Ltmp45:
	.loc	1 300 41                        ; attention_aot.py:300:41
	v_and_or_b32 v2, s0, 64, v2
.Ltmp46:
	.loc	2 293 36                        ; standard.py:293:36 @[ attention_aot.py:316:19 ]
	v_readlane_b32 s1, v7, 63
	v_mov_b32_e32 v7, v4
.Ltmp47:
	.loc	1 300 41                        ; attention_aot.py:300:41
	v_readlane_b32 s12, v82, 3
	.loc	1 315 9                         ; attention_aot.py:315:9
	v_cvt_f32_f16_e32 v80, v65
.Ltmp48:
	.loc	2 293 36                        ; standard.py:293:36 @[ attention_aot.py:316:19 ]
	v_mov_b32_dpp v7, v7 row_bcast:15 row_mask:0xa bank_mask:0xf bound_ctrl:1
.Ltmp49:
	.loc	2 263 15                        ; standard.py:263:15 @[ standard.py:293:36 @[ attention_aot.py:316:19 ] ]
	v_add_f32_e32 v4, v4, v7
.Ltmp50:
	.loc	1 300 41                        ; attention_aot.py:300:41
	v_or_b32_e32 v2, s12, v2
	.loc	1 301 19                        ; attention_aot.py:301:19
	v_cmp_gt_i32_e32 vcc, s10, v2
.Ltmp51:
	.loc	2 263 15                        ; standard.py:263:15 @[ standard.py:293:36 @[ attention_aot.py:316:19 ] ]
	v_add_f32_dpp v4, v4, v4 row_bcast:31 row_mask:0xf bank_mask:0xf bound_ctrl:1
.Ltmp52:
	.loc	1 316 23                        ; attention_aot.py:316:23
	v_cvt_f32_f16_e32 v81, v33
.Ltmp53:
	.loc	2 293 36                        ; standard.py:293:36 @[ attention_aot.py:316:19 ]
	v_readlane_b32 s2, v4, 63
.Ltmp54:
	.loc	2 263 15                        ; standard.py:263:15 @[ standard.py:293:36 @[ attention_aot.py:316:19 ] ]
	v_add_f32_dpp v4, v10, v10 row_shr:4 row_mask:0xf bank_mask:0xf bound_ctrl:1
.Ltmp55:
	.loc	1 318 45                        ; attention_aot.py:318:45
	s_add_i32 s0, s0, 0
	.loc	1 316 23                        ; attention_aot.py:316:23
	v_mul_f32_e32 v77, v81, v80
.Ltmp56:
	.loc	2 263 15                        ; standard.py:263:15 @[ standard.py:293:36 @[ attention_aot.py:316:19 ] ]
	v_add_f32_dpp v4, v4, v4 row_shr:2 row_mask:0xf bank_mask:0xf bound_ctrl:1
	s_nop 1
	v_add_f32_dpp v4, v4, v4 row_shr:1 row_mask:0xf bank_mask:0xf bound_ctrl:1
.Ltmp57:
	.loc	2 293 36                        ; standard.py:293:36 @[ attention_aot.py:316:19 ]
	v_mov_b32_e32 v7, v4
	s_nop 1
	v_mov_b32_dpp v7, v7 row_bcast:15 row_mask:0xa bank_mask:0xf bound_ctrl:1
.Ltmp58:
	.loc	2 263 15                        ; standard.py:263:15 @[ standard.py:293:36 @[ attention_aot.py:316:19 ] ]
	v_add_f32_e32 v4, v4, v7
	s_nop 1
	v_add_f32_dpp v4, v4, v4 row_bcast:31 row_mask:0xf bank_mask:0xf bound_ctrl:1
.Ltmp59:
	.loc	2 293 36                        ; standard.py:293:36 @[ attention_aot.py:316:19 ]
	s_nop 0
	v_readlane_b32 s3, v4, 63
.Ltmp60:
	.loc	2 263 15                        ; standard.py:263:15 @[ standard.py:293:36 @[ attention_aot.py:316:19 ] ]
	v_add_f32_dpp v4, v8, v8 row_shr:4 row_mask:0xf bank_mask:0xf bound_ctrl:1
	s_nop 1
	v_add_f32_dpp v4, v4, v4 row_shr:2 row_mask:0xf bank_mask:0xf bound_ctrl:1
	s_nop 1
	v_add_f32_dpp v4, v4, v4 row_shr:1 row_mask:0xf bank_mask:0xf bound_ctrl:1
.Ltmp61:
	.loc	2 293 36                        ; standard.py:293:36 @[ attention_aot.py:316:19 ]
	v_mov_b32_e32 v7, v4
	s_nop 1
	v_mov_b32_dpp v7, v7 row_bcast:15 row_mask:0xa bank_mask:0xf bound_ctrl:1
.Ltmp62:
	.loc	2 263 15                        ; standard.py:263:15 @[ standard.py:293:36 @[ attention_aot.py:316:19 ] ]
	v_add_f32_e32 v4, v4, v7
	s_nop 1
	v_add_f32_dpp v4, v4, v4 row_bcast:31 row_mask:0xf bank_mask:0xf bound_ctrl:1
.Ltmp63:
	.loc	2 293 36                        ; standard.py:293:36 @[ attention_aot.py:316:19 ]
	s_nop 0
	v_readlane_b32 s4, v4, 63
.Ltmp64:
	.loc	2 263 15                        ; standard.py:263:15 @[ standard.py:293:36 @[ attention_aot.py:316:19 ] ]
	v_add_f32_dpp v4, v13, v13 row_shr:4 row_mask:0xf bank_mask:0xf bound_ctrl:1
	s_nop 1
	v_add_f32_dpp v4, v4, v4 row_shr:2 row_mask:0xf bank_mask:0xf bound_ctrl:1
	s_nop 1
	v_add_f32_dpp v4, v4, v4 row_shr:1 row_mask:0xf bank_mask:0xf bound_ctrl:1
.Ltmp65:
	.loc	2 293 36                        ; standard.py:293:36 @[ attention_aot.py:316:19 ]
	v_mov_b32_e32 v7, v4
	s_nop 1
	v_mov_b32_dpp v7, v7 row_bcast:15 row_mask:0xa bank_mask:0xf bound_ctrl:1
.Ltmp66:
	.loc	2 263 15                        ; standard.py:263:15 @[ standard.py:293:36 @[ attention_aot.py:316:19 ] ]
	v_add_f32_e32 v4, v4, v7
	s_nop 1
	v_add_f32_dpp v4, v4, v4 row_bcast:31 row_mask:0xf bank_mask:0xf bound_ctrl:1
.Ltmp67:
	.loc	2 293 36                        ; standard.py:293:36 @[ attention_aot.py:316:19 ]
	s_nop 0
	v_readlane_b32 s5, v4, 63
.Ltmp68:
	.loc	2 263 15                        ; standard.py:263:15 @[ standard.py:293:36 @[ attention_aot.py:316:19 ] ]
	v_add_f32_dpp v4, v12, v12 row_shr:4 row_mask:0xf bank_mask:0xf bound_ctrl:1
	s_nop 1
	v_add_f32_dpp v4, v4, v4 row_shr:2 row_mask:0xf bank_mask:0xf bound_ctrl:1
	s_nop 1
	v_add_f32_dpp v4, v4, v4 row_shr:1 row_mask:0xf bank_mask:0xf bound_ctrl:1
.Ltmp69:
	.loc	2 293 36                        ; standard.py:293:36 @[ attention_aot.py:316:19 ]
	v_mov_b32_e32 v7, v4
	s_nop 1
	v_mov_b32_dpp v7, v7 row_bcast:15 row_mask:0xa bank_mask:0xf bound_ctrl:1
.Ltmp70:
	.loc	2 263 15                        ; standard.py:263:15 @[ standard.py:293:36 @[ attention_aot.py:316:19 ] ]
	v_add_f32_e32 v4, v4, v7
	s_nop 1
	v_add_f32_dpp v4, v4, v4 row_bcast:31 row_mask:0xf bank_mask:0xf bound_ctrl:1
.Ltmp71:
	.loc	2 293 36                        ; standard.py:293:36 @[ attention_aot.py:316:19 ]
	s_nop 0
	v_readlane_b32 s6, v4, 63
.Ltmp72:
	.loc	2 263 15                        ; standard.py:263:15 @[ standard.py:293:36 @[ attention_aot.py:316:19 ] ]
	v_add_f32_dpp v4, v17, v17 row_shr:4 row_mask:0xf bank_mask:0xf bound_ctrl:1
	s_nop 1
	v_add_f32_dpp v4, v4, v4 row_shr:2 row_mask:0xf bank_mask:0xf bound_ctrl:1
	s_nop 1
	v_add_f32_dpp v4, v4, v4 row_shr:1 row_mask:0xf bank_mask:0xf bound_ctrl:1
.Ltmp73:
	.loc	2 293 36                        ; standard.py:293:36 @[ attention_aot.py:316:19 ]
	v_mov_b32_e32 v7, v4
	s_nop 1
	v_mov_b32_dpp v7, v7 row_bcast:15 row_mask:0xa bank_mask:0xf bound_ctrl:1
.Ltmp74:
	.loc	2 263 15                        ; standard.py:263:15 @[ standard.py:293:36 @[ attention_aot.py:316:19 ] ]
	v_add_f32_e32 v4, v4, v7
	s_nop 1
	v_add_f32_dpp v4, v4, v4 row_bcast:31 row_mask:0xf bank_mask:0xf bound_ctrl:1
.Ltmp75:
	.loc	2 293 36                        ; standard.py:293:36 @[ attention_aot.py:316:19 ]
	s_nop 0
	v_readlane_b32 s7, v4, 63
.Ltmp76:
	.loc	2 263 15                        ; standard.py:263:15 @[ standard.py:293:36 @[ attention_aot.py:316:19 ] ]
	v_add_f32_dpp v4, v15, v15 row_shr:4 row_mask:0xf bank_mask:0xf bound_ctrl:1
	s_nop 1
	v_add_f32_dpp v4, v4, v4 row_shr:2 row_mask:0xf bank_mask:0xf bound_ctrl:1
	s_nop 1
	v_add_f32_dpp v4, v4, v4 row_shr:1 row_mask:0xf bank_mask:0xf bound_ctrl:1
.Ltmp77:
	.loc	2 293 36                        ; standard.py:293:36 @[ attention_aot.py:316:19 ]
	v_mov_b32_e32 v7, v4
	s_nop 1
	v_mov_b32_dpp v7, v7 row_bcast:15 row_mask:0xa bank_mask:0xf bound_ctrl:1
.Ltmp78:
	.loc	2 263 15                        ; standard.py:263:15 @[ standard.py:293:36 @[ attention_aot.py:316:19 ] ]
	v_add_f32_e32 v4, v4, v7
	s_nop 1
	v_add_f32_dpp v4, v4, v4 row_bcast:31 row_mask:0xf bank_mask:0xf bound_ctrl:1
.Ltmp79:
	.loc	2 293 36                        ; standard.py:293:36 @[ attention_aot.py:316:19 ]
	s_nop 0
	v_readlane_b32 s8, v4, 63
.Ltmp80:
	.loc	2 263 15                        ; standard.py:263:15 @[ standard.py:293:36 @[ attention_aot.py:316:19 ] ]
	v_add_f32_dpp v4, v20, v20 row_shr:4 row_mask:0xf bank_mask:0xf bound_ctrl:1
	s_nop 1
	v_add_f32_dpp v4, v4, v4 row_shr:2 row_mask:0xf bank_mask:0xf bound_ctrl:1
	s_nop 1
	v_add_f32_dpp v4, v4, v4 row_shr:1 row_mask:0xf bank_mask:0xf bound_ctrl:1
.Ltmp81:
	.loc	2 293 36                        ; standard.py:293:36 @[ attention_aot.py:316:19 ]
	v_mov_b32_e32 v7, v4
	s_nop 1
	v_mov_b32_dpp v7, v7 row_bcast:15 row_mask:0xa bank_mask:0xf bound_ctrl:1
.Ltmp82:
	.loc	2 263 15                        ; standard.py:263:15 @[ standard.py:293:36 @[ attention_aot.py:316:19 ] ]
	v_add_f32_e32 v4, v4, v7
	s_nop 1
	v_add_f32_dpp v4, v4, v4 row_bcast:31 row_mask:0xf bank_mask:0xf bound_ctrl:1
.Ltmp83:
	.loc	2 293 36                        ; standard.py:293:36 @[ attention_aot.py:316:19 ]
	s_nop 0
	v_readlane_b32 s9, v4, 63
.Ltmp84:
	.loc	2 263 15                        ; standard.py:263:15 @[ standard.py:293:36 @[ attention_aot.py:316:19 ] ]
	v_add_f32_dpp v4, v18, v18 row_shr:4 row_mask:0xf bank_mask:0xf bound_ctrl:1
	s_nop 1
	v_add_f32_dpp v4, v4, v4 row_shr:2 row_mask:0xf bank_mask:0xf bound_ctrl:1
	s_nop 1
	v_add_f32_dpp v4, v4, v4 row_shr:1 row_mask:0xf bank_mask:0xf bound_ctrl:1
.Ltmp85:
	.loc	2 293 36                        ; standard.py:293:36 @[ attention_aot.py:316:19 ]
	v_mov_b32_e32 v7, v4
	s_nop 1
	v_mov_b32_dpp v7, v7 row_bcast:15 row_mask:0xa bank_mask:0xf bound_ctrl:1
.Ltmp86:
	.loc	2 263 15                        ; standard.py:263:15 @[ standard.py:293:36 @[ attention_aot.py:316:19 ] ]
	v_add_f32_e32 v4, v4, v7
.Ltmp87:
	.loc	1 318 45                        ; attention_aot.py:318:45
	v_mov_b32_e32 v7, s4
	v_readlane_b32 s4, v82, 2
.Ltmp88:
	.loc	2 263 15                        ; standard.py:263:15 @[ standard.py:293:36 @[ attention_aot.py:316:19 ] ]
	v_add_f32_dpp v4, v4, v4 row_bcast:31 row_mask:0xf bank_mask:0xf bound_ctrl:1
.Ltmp89:
	.loc	1 318 45                        ; attention_aot.py:318:45
	s_bitcmp0_b32 s4, 7
.Ltmp90:
	.loc	2 293 36                        ; standard.py:293:36 @[ attention_aot.py:316:19 ]
	v_readlane_b32 s11, v4, 63
	v_mov_b32_dpp v4, v43 row_shr:8 row_mask:0xf bank_mask:0xf bound_ctrl:1
.Ltmp91:
	.loc	2 263 15                        ; standard.py:263:15 @[ standard.py:293:36 @[ attention_aot.py:316:19 ] ]
	v_fma_mix_f32 v3, v3, v36, v4 op_sel_hi:[1,1,0]
	s_nop 1
	v_add_f32_dpp v3, v3, v3 row_shr:4 row_mask:0xf bank_mask:0xf bound_ctrl:1
	s_nop 1
	v_add_f32_dpp v3, v3, v3 row_shr:2 row_mask:0xf bank_mask:0xf bound_ctrl:1
	;; [unrolled: 2-line block ×3, first 2 shown]
.Ltmp92:
	.loc	2 293 36                        ; standard.py:293:36 @[ attention_aot.py:316:19 ]
	v_mov_b32_e32 v4, v3
	s_nop 1
	v_mov_b32_dpp v4, v4 row_bcast:15 row_mask:0xa bank_mask:0xf bound_ctrl:1
.Ltmp93:
	.loc	2 263 15                        ; standard.py:263:15 @[ standard.py:293:36 @[ attention_aot.py:316:19 ] ]
	v_add_f32_e32 v3, v3, v4
.Ltmp94:
	.loc	1 318 45                        ; attention_aot.py:318:45
	v_mov_b32_e32 v4, s1
.Ltmp95:
	.loc	2 263 15                        ; standard.py:263:15 @[ standard.py:293:36 @[ attention_aot.py:316:19 ] ]
	s_nop 0
	v_add_f32_dpp v3, v3, v3 row_bcast:31 row_mask:0xf bank_mask:0xf bound_ctrl:1
.Ltmp96:
	.loc	2 293 36                        ; standard.py:293:36 @[ attention_aot.py:316:19 ]
	s_nop 0
	v_readlane_b32 s10, v3, 63
	v_mov_b32_dpp v3, v48 row_shr:8 row_mask:0xf bank_mask:0xf bound_ctrl:1
.Ltmp97:
	.loc	2 263 15                        ; standard.py:263:15 @[ standard.py:293:36 @[ attention_aot.py:316:19 ] ]
	v_fma_mix_f32 v1, v1, v35, v3 op_sel_hi:[1,1,0]
	s_nop 1
	v_add_f32_dpp v1, v1, v1 row_shr:4 row_mask:0xf bank_mask:0xf bound_ctrl:1
	s_nop 1
	v_add_f32_dpp v1, v1, v1 row_shr:2 row_mask:0xf bank_mask:0xf bound_ctrl:1
	;; [unrolled: 2-line block ×3, first 2 shown]
.Ltmp98:
	.loc	2 293 36                        ; standard.py:293:36 @[ attention_aot.py:316:19 ]
	v_mov_b32_e32 v3, v1
	s_nop 1
	v_mov_b32_dpp v3, v3 row_bcast:15 row_mask:0xa bank_mask:0xf bound_ctrl:1
.Ltmp99:
	.loc	2 263 15                        ; standard.py:263:15 @[ standard.py:293:36 @[ attention_aot.py:316:19 ] ]
	v_add_f32_e32 v1, v1, v3
	s_nop 1
	v_add_f32_dpp v1, v1, v1 row_bcast:31 row_mask:0xf bank_mask:0xf bound_ctrl:1
.Ltmp100:
	.loc	2 293 36                        ; standard.py:293:36 @[ attention_aot.py:316:19 ]
	s_nop 0
	v_readlane_b32 s12, v1, 63
	v_mov_b32_dpp v1, v49 row_shr:8 row_mask:0xf bank_mask:0xf bound_ctrl:1
.Ltmp101:
	.loc	2 263 15                        ; standard.py:263:15 @[ standard.py:293:36 @[ attention_aot.py:316:19 ] ]
	v_fma_mix_f32 v1, v6, v38, v1 op_sel_hi:[1,1,0]
.Ltmp102:
	.loc	1 318 45                        ; attention_aot.py:318:45
	v_mov_b32_e32 v6, s3
.Ltmp103:
	.loc	2 263 15                        ; standard.py:263:15 @[ standard.py:293:36 @[ attention_aot.py:316:19 ] ]
	s_nop 0
	v_add_f32_dpp v1, v1, v1 row_shr:4 row_mask:0xf bank_mask:0xf bound_ctrl:1
	s_nop 1
	v_add_f32_dpp v1, v1, v1 row_shr:2 row_mask:0xf bank_mask:0xf bound_ctrl:1
	;; [unrolled: 2-line block ×3, first 2 shown]
.Ltmp104:
	.loc	2 293 36                        ; standard.py:293:36 @[ attention_aot.py:316:19 ]
	v_mov_b32_e32 v3, v1
	s_nop 1
	v_mov_b32_dpp v3, v3 row_bcast:15 row_mask:0xa bank_mask:0xf bound_ctrl:1
.Ltmp105:
	.loc	2 263 15                        ; standard.py:263:15 @[ standard.py:293:36 @[ attention_aot.py:316:19 ] ]
	v_add_f32_e32 v1, v1, v3
	s_nop 1
	v_add_f32_dpp v1, v1, v1 row_bcast:31 row_mask:0xf bank_mask:0xf bound_ctrl:1
.Ltmp106:
	.loc	2 293 36                        ; standard.py:293:36 @[ attention_aot.py:316:19 ]
	s_nop 0
	v_readlane_b32 s13, v1, 63
	v_mov_b32_dpp v1, v67 row_shr:8 row_mask:0xf bank_mask:0xf bound_ctrl:1
.Ltmp107:
	.loc	2 263 15                        ; standard.py:263:15 @[ standard.py:293:36 @[ attention_aot.py:316:19 ] ]
	v_fma_mix_f32 v1, v5, v37, v1 op_sel_hi:[1,1,0]
.Ltmp108:
	.loc	1 318 45                        ; attention_aot.py:318:45
	v_mov_b32_e32 v5, s2
.Ltmp109:
	.loc	2 263 15                        ; standard.py:263:15 @[ standard.py:293:36 @[ attention_aot.py:316:19 ] ]
	s_nop 0
	v_add_f32_dpp v1, v1, v1 row_shr:4 row_mask:0xf bank_mask:0xf bound_ctrl:1
	s_nop 1
	v_add_f32_dpp v1, v1, v1 row_shr:2 row_mask:0xf bank_mask:0xf bound_ctrl:1
	;; [unrolled: 2-line block ×3, first 2 shown]
.Ltmp110:
	.loc	2 293 36                        ; standard.py:293:36 @[ attention_aot.py:316:19 ]
	v_mov_b32_e32 v3, v1
	s_nop 1
	v_mov_b32_dpp v3, v3 row_bcast:15 row_mask:0xa bank_mask:0xf bound_ctrl:1
.Ltmp111:
	.loc	2 263 15                        ; standard.py:263:15 @[ standard.py:293:36 @[ attention_aot.py:316:19 ] ]
	v_add_f32_e32 v1, v1, v3
	s_nop 1
	v_add_f32_dpp v1, v1, v1 row_bcast:31 row_mask:0xf bank_mask:0xf bound_ctrl:1
.Ltmp112:
	.loc	2 293 36                        ; standard.py:293:36 @[ attention_aot.py:316:19 ]
	s_nop 0
	v_readlane_b32 s14, v1, 63
	v_mov_b32_dpp v1, v23 row_shr:8 row_mask:0xf bank_mask:0xf bound_ctrl:1
.Ltmp113:
	.loc	2 263 15                        ; standard.py:263:15 @[ standard.py:293:36 @[ attention_aot.py:316:19 ] ]
	v_fma_mix_f32 v1, v11, v40, v1 op_sel_hi:[1,1,0]
	s_nop 1
	v_add_f32_dpp v1, v1, v1 row_shr:4 row_mask:0xf bank_mask:0xf bound_ctrl:1
	s_nop 1
	v_add_f32_dpp v1, v1, v1 row_shr:2 row_mask:0xf bank_mask:0xf bound_ctrl:1
	;; [unrolled: 2-line block ×3, first 2 shown]
.Ltmp114:
	.loc	2 293 36                        ; standard.py:293:36 @[ attention_aot.py:316:19 ]
	v_mov_b32_e32 v3, v1
	s_nop 1
	v_mov_b32_dpp v3, v3 row_bcast:15 row_mask:0xa bank_mask:0xf bound_ctrl:1
.Ltmp115:
	.loc	2 263 15                        ; standard.py:263:15 @[ standard.py:293:36 @[ attention_aot.py:316:19 ] ]
	v_add_f32_e32 v1, v1, v3
	s_nop 1
	v_add_f32_dpp v1, v1, v1 row_bcast:31 row_mask:0xf bank_mask:0xf bound_ctrl:1
.Ltmp116:
	.loc	2 293 36                        ; standard.py:293:36 @[ attention_aot.py:316:19 ]
	s_nop 0
	v_readlane_b32 s15, v1, 63
	v_mov_b32_dpp v1, v57 row_shr:8 row_mask:0xf bank_mask:0xf bound_ctrl:1
.Ltmp117:
	.loc	2 263 15                        ; standard.py:263:15 @[ standard.py:293:36 @[ attention_aot.py:316:19 ] ]
	v_fma_mix_f32 v1, v9, v39, v1 op_sel_hi:[1,1,0]
	s_nop 1
	v_add_f32_dpp v1, v1, v1 row_shr:4 row_mask:0xf bank_mask:0xf bound_ctrl:1
	s_nop 1
	v_add_f32_dpp v1, v1, v1 row_shr:2 row_mask:0xf bank_mask:0xf bound_ctrl:1
	;; [unrolled: 2-line block ×3, first 2 shown]
.Ltmp118:
	.loc	2 293 36                        ; standard.py:293:36 @[ attention_aot.py:316:19 ]
	v_mov_b32_e32 v3, v1
	s_nop 1
	v_mov_b32_dpp v3, v3 row_bcast:15 row_mask:0xa bank_mask:0xf bound_ctrl:1
.Ltmp119:
	.loc	2 263 15                        ; standard.py:263:15 @[ standard.py:293:36 @[ attention_aot.py:316:19 ] ]
	v_add_f32_e32 v1, v1, v3
	s_nop 1
	v_add_f32_dpp v1, v1, v1 row_bcast:31 row_mask:0xf bank_mask:0xf bound_ctrl:1
.Ltmp120:
	.loc	2 293 36                        ; standard.py:293:36 @[ attention_aot.py:316:19 ]
	s_nop 0
	v_readlane_b32 s16, v1, 63
	v_mov_b32_dpp v1, v51 row_shr:8 row_mask:0xf bank_mask:0xf bound_ctrl:1
.Ltmp121:
	.loc	2 263 15                        ; standard.py:263:15 @[ standard.py:293:36 @[ attention_aot.py:316:19 ] ]
	v_fma_mix_f32 v1, v16, v42, v1 op_sel_hi:[1,1,0]
	s_nop 1
	v_add_f32_dpp v1, v1, v1 row_shr:4 row_mask:0xf bank_mask:0xf bound_ctrl:1
	s_nop 1
	v_add_f32_dpp v1, v1, v1 row_shr:2 row_mask:0xf bank_mask:0xf bound_ctrl:1
	;; [unrolled: 2-line block ×3, first 2 shown]
.Ltmp122:
	.loc	2 293 36                        ; standard.py:293:36 @[ attention_aot.py:316:19 ]
	v_mov_b32_e32 v3, v1
	s_nop 1
	v_mov_b32_dpp v3, v3 row_bcast:15 row_mask:0xa bank_mask:0xf bound_ctrl:1
.Ltmp123:
	.loc	2 263 15                        ; standard.py:263:15 @[ standard.py:293:36 @[ attention_aot.py:316:19 ] ]
	v_add_f32_e32 v1, v1, v3
	s_nop 1
	v_add_f32_dpp v1, v1, v1 row_bcast:31 row_mask:0xf bank_mask:0xf bound_ctrl:1
.Ltmp124:
	.loc	2 293 36                        ; standard.py:293:36 @[ attention_aot.py:316:19 ]
	s_nop 0
	v_readlane_b32 s17, v1, 63
	v_mov_b32_dpp v1, v53 row_shr:8 row_mask:0xf bank_mask:0xf bound_ctrl:1
.Ltmp125:
	.loc	2 263 15                        ; standard.py:263:15 @[ standard.py:293:36 @[ attention_aot.py:316:19 ] ]
	v_fma_mix_f32 v1, v14, v41, v1 op_sel_hi:[1,1,0]
	s_nop 1
	v_add_f32_dpp v1, v1, v1 row_shr:4 row_mask:0xf bank_mask:0xf bound_ctrl:1
	s_nop 1
	v_add_f32_dpp v1, v1, v1 row_shr:2 row_mask:0xf bank_mask:0xf bound_ctrl:1
	;; [unrolled: 2-line block ×3, first 2 shown]
.Ltmp126:
	.loc	2 293 36                        ; standard.py:293:36 @[ attention_aot.py:316:19 ]
	v_mov_b32_e32 v3, v1
	s_nop 1
	v_mov_b32_dpp v3, v3 row_bcast:15 row_mask:0xa bank_mask:0xf bound_ctrl:1
.Ltmp127:
	.loc	2 263 15                        ; standard.py:263:15 @[ standard.py:293:36 @[ attention_aot.py:316:19 ] ]
	v_add_f32_e32 v1, v1, v3
	s_nop 1
	v_add_f32_dpp v1, v1, v1 row_bcast:31 row_mask:0xf bank_mask:0xf bound_ctrl:1
.Ltmp128:
	.loc	2 293 36                        ; standard.py:293:36 @[ attention_aot.py:316:19 ]
	s_nop 0
	v_readlane_b32 s18, v1, 63
	v_mov_b32_dpp v1, v46 row_shr:8 row_mask:0xf bank_mask:0xf bound_ctrl:1
.Ltmp129:
	.loc	2 263 15                        ; standard.py:263:15 @[ standard.py:293:36 @[ attention_aot.py:316:19 ] ]
	v_fma_mix_f32 v1, v21, v45, v1 op_sel_hi:[1,1,0]
	s_nop 1
	v_add_f32_dpp v1, v1, v1 row_shr:4 row_mask:0xf bank_mask:0xf bound_ctrl:1
	s_nop 1
	v_add_f32_dpp v1, v1, v1 row_shr:2 row_mask:0xf bank_mask:0xf bound_ctrl:1
	;; [unrolled: 2-line block ×3, first 2 shown]
.Ltmp130:
	.loc	2 293 36                        ; standard.py:293:36 @[ attention_aot.py:316:19 ]
	v_mov_b32_e32 v3, v1
	s_nop 1
	v_mov_b32_dpp v3, v3 row_bcast:15 row_mask:0xa bank_mask:0xf bound_ctrl:1
.Ltmp131:
	.loc	2 263 15                        ; standard.py:263:15 @[ standard.py:293:36 @[ attention_aot.py:316:19 ] ]
	v_add_f32_e32 v1, v1, v3
	s_nop 1
	v_add_f32_dpp v1, v1, v1 row_bcast:31 row_mask:0xf bank_mask:0xf bound_ctrl:1
.Ltmp132:
	.loc	2 293 36                        ; standard.py:293:36 @[ attention_aot.py:316:19 ]
	s_nop 0
	v_readlane_b32 s19, v1, 63
	v_mov_b32_dpp v1, v58 row_shr:8 row_mask:0xf bank_mask:0xf bound_ctrl:1
.Ltmp133:
	.loc	2 263 15                        ; standard.py:263:15 @[ standard.py:293:36 @[ attention_aot.py:316:19 ] ]
	v_fma_mix_f32 v1, v19, v44, v1 op_sel_hi:[1,1,0]
	s_nop 1
	v_add_f32_dpp v1, v1, v1 row_shr:4 row_mask:0xf bank_mask:0xf bound_ctrl:1
	s_nop 1
	v_add_f32_dpp v1, v1, v1 row_shr:2 row_mask:0xf bank_mask:0xf bound_ctrl:1
	;; [unrolled: 2-line block ×3, first 2 shown]
.Ltmp134:
	.loc	2 293 36                        ; standard.py:293:36 @[ attention_aot.py:316:19 ]
	v_mov_b32_e32 v3, v1
	s_nop 1
	v_mov_b32_dpp v3, v3 row_bcast:15 row_mask:0xa bank_mask:0xf bound_ctrl:1
.Ltmp135:
	.loc	2 263 15                        ; standard.py:263:15 @[ standard.py:293:36 @[ attention_aot.py:316:19 ] ]
	v_add_f32_e32 v1, v1, v3
	s_nop 1
	v_add_f32_dpp v1, v1, v1 row_bcast:31 row_mask:0xf bank_mask:0xf bound_ctrl:1
.Ltmp136:
	.loc	2 293 36                        ; standard.py:293:36 @[ attention_aot.py:316:19 ]
	s_nop 0
	v_readlane_b32 s20, v1, 63
	v_mov_b32_dpp v1, v54 row_shr:8 row_mask:0xf bank_mask:0xf bound_ctrl:1
.Ltmp137:
	.loc	2 263 15                        ; standard.py:263:15 @[ standard.py:293:36 @[ attention_aot.py:316:19 ] ]
	v_fma_mix_f32 v1, v24, v50, v1 op_sel_hi:[1,1,0]
	s_nop 1
	v_add_f32_dpp v1, v1, v1 row_shr:4 row_mask:0xf bank_mask:0xf bound_ctrl:1
	s_nop 1
	v_add_f32_dpp v1, v1, v1 row_shr:2 row_mask:0xf bank_mask:0xf bound_ctrl:1
	;; [unrolled: 2-line block ×3, first 2 shown]
.Ltmp138:
	.loc	2 293 36                        ; standard.py:293:36 @[ attention_aot.py:316:19 ]
	v_mov_b32_e32 v3, v1
	s_nop 1
	v_mov_b32_dpp v3, v3 row_bcast:15 row_mask:0xa bank_mask:0xf bound_ctrl:1
.Ltmp139:
	.loc	2 263 15                        ; standard.py:263:15 @[ standard.py:293:36 @[ attention_aot.py:316:19 ] ]
	v_add_f32_e32 v1, v1, v3
	s_nop 1
	v_add_f32_dpp v1, v1, v1 row_bcast:31 row_mask:0xf bank_mask:0xf bound_ctrl:1
.Ltmp140:
	.loc	2 293 36                        ; standard.py:293:36 @[ attention_aot.py:316:19 ]
	s_nop 0
	v_readlane_b32 s21, v1, 63
	v_mov_b32_dpp v1, v61 row_shr:8 row_mask:0xf bank_mask:0xf bound_ctrl:1
.Ltmp141:
	.loc	2 263 15                        ; standard.py:263:15 @[ standard.py:293:36 @[ attention_aot.py:316:19 ] ]
	v_fma_mix_f32 v1, v22, v47, v1 op_sel_hi:[1,1,0]
	s_nop 1
	v_add_f32_dpp v1, v1, v1 row_shr:4 row_mask:0xf bank_mask:0xf bound_ctrl:1
	s_nop 1
	v_add_f32_dpp v1, v1, v1 row_shr:2 row_mask:0xf bank_mask:0xf bound_ctrl:1
	;; [unrolled: 2-line block ×3, first 2 shown]
.Ltmp142:
	.loc	2 293 36                        ; standard.py:293:36 @[ attention_aot.py:316:19 ]
	v_mov_b32_e32 v3, v1
	s_nop 1
	v_mov_b32_dpp v3, v3 row_bcast:15 row_mask:0xa bank_mask:0xf bound_ctrl:1
.Ltmp143:
	.loc	2 263 15                        ; standard.py:263:15 @[ standard.py:293:36 @[ attention_aot.py:316:19 ] ]
	v_add_f32_e32 v1, v1, v3
	s_nop 1
	v_add_f32_dpp v1, v1, v1 row_bcast:31 row_mask:0xf bank_mask:0xf bound_ctrl:1
.Ltmp144:
	.loc	2 293 36                        ; standard.py:293:36 @[ attention_aot.py:316:19 ]
	s_nop 0
	v_readlane_b32 s22, v1, 63
	v_mov_b32_dpp v1, v68 row_shr:8 row_mask:0xf bank_mask:0xf bound_ctrl:1
.Ltmp145:
	.loc	2 263 15                        ; standard.py:263:15 @[ standard.py:293:36 @[ attention_aot.py:316:19 ] ]
	v_fma_mix_f32 v1, v26, v55, v1 op_sel_hi:[1,1,0]
	s_nop 1
	v_add_f32_dpp v1, v1, v1 row_shr:4 row_mask:0xf bank_mask:0xf bound_ctrl:1
	s_nop 1
	v_add_f32_dpp v1, v1, v1 row_shr:2 row_mask:0xf bank_mask:0xf bound_ctrl:1
	;; [unrolled: 2-line block ×3, first 2 shown]
.Ltmp146:
	.loc	2 293 36                        ; standard.py:293:36 @[ attention_aot.py:316:19 ]
	v_mov_b32_e32 v3, v1
	s_nop 1
	v_mov_b32_dpp v3, v3 row_bcast:15 row_mask:0xa bank_mask:0xf bound_ctrl:1
.Ltmp147:
	.loc	2 263 15                        ; standard.py:263:15 @[ standard.py:293:36 @[ attention_aot.py:316:19 ] ]
	v_add_f32_e32 v1, v1, v3
	s_nop 1
	v_add_f32_dpp v1, v1, v1 row_bcast:31 row_mask:0xf bank_mask:0xf bound_ctrl:1
.Ltmp148:
	.loc	2 293 36                        ; standard.py:293:36 @[ attention_aot.py:316:19 ]
	s_nop 0
	v_readlane_b32 s23, v1, 63
	v_mov_b32_dpp v1, v69 row_shr:8 row_mask:0xf bank_mask:0xf bound_ctrl:1
.Ltmp149:
	.loc	2 263 15                        ; standard.py:263:15 @[ standard.py:293:36 @[ attention_aot.py:316:19 ] ]
	v_fma_mix_f32 v1, v25, v52, v1 op_sel_hi:[1,1,0]
	s_nop 1
	v_add_f32_dpp v1, v1, v1 row_shr:4 row_mask:0xf bank_mask:0xf bound_ctrl:1
	s_nop 1
	v_add_f32_dpp v1, v1, v1 row_shr:2 row_mask:0xf bank_mask:0xf bound_ctrl:1
	;; [unrolled: 2-line block ×3, first 2 shown]
.Ltmp150:
	.loc	2 293 36                        ; standard.py:293:36 @[ attention_aot.py:316:19 ]
	v_mov_b32_e32 v3, v1
	s_nop 1
	v_mov_b32_dpp v3, v3 row_bcast:15 row_mask:0xa bank_mask:0xf bound_ctrl:1
.Ltmp151:
	.loc	2 263 15                        ; standard.py:263:15 @[ standard.py:293:36 @[ attention_aot.py:316:19 ] ]
	v_add_f32_e32 v1, v1, v3
	s_nop 1
	v_add_f32_dpp v1, v1, v1 row_bcast:31 row_mask:0xf bank_mask:0xf bound_ctrl:1
.Ltmp152:
	.loc	2 293 36                        ; standard.py:293:36 @[ attention_aot.py:316:19 ]
	s_nop 0
	v_readlane_b32 s24, v1, 63
	v_mov_b32_dpp v1, v70 row_shr:8 row_mask:0xf bank_mask:0xf bound_ctrl:1
.Ltmp153:
	.loc	2 263 15                        ; standard.py:263:15 @[ standard.py:293:36 @[ attention_aot.py:316:19 ] ]
	v_fma_mix_f32 v1, v28, v59, v1 op_sel_hi:[1,1,0]
	s_nop 1
	v_add_f32_dpp v1, v1, v1 row_shr:4 row_mask:0xf bank_mask:0xf bound_ctrl:1
	s_nop 1
	v_add_f32_dpp v1, v1, v1 row_shr:2 row_mask:0xf bank_mask:0xf bound_ctrl:1
	;; [unrolled: 2-line block ×3, first 2 shown]
.Ltmp154:
	.loc	2 293 36                        ; standard.py:293:36 @[ attention_aot.py:316:19 ]
	v_mov_b32_e32 v3, v1
	s_nop 1
	v_mov_b32_dpp v3, v3 row_bcast:15 row_mask:0xa bank_mask:0xf bound_ctrl:1
.Ltmp155:
	.loc	2 263 15                        ; standard.py:263:15 @[ standard.py:293:36 @[ attention_aot.py:316:19 ] ]
	v_add_f32_e32 v1, v1, v3
	s_nop 1
	v_add_f32_dpp v1, v1, v1 row_bcast:31 row_mask:0xf bank_mask:0xf bound_ctrl:1
.Ltmp156:
	.loc	2 293 36                        ; standard.py:293:36 @[ attention_aot.py:316:19 ]
	s_nop 0
	v_readlane_b32 s25, v1, 63
	v_mov_b32_dpp v1, v71 row_shr:8 row_mask:0xf bank_mask:0xf bound_ctrl:1
.Ltmp157:
	.loc	2 263 15                        ; standard.py:263:15 @[ standard.py:293:36 @[ attention_aot.py:316:19 ] ]
	v_fma_mix_f32 v1, v27, v56, v1 op_sel_hi:[1,1,0]
	s_nop 1
	v_add_f32_dpp v1, v1, v1 row_shr:4 row_mask:0xf bank_mask:0xf bound_ctrl:1
	s_nop 1
	v_add_f32_dpp v1, v1, v1 row_shr:2 row_mask:0xf bank_mask:0xf bound_ctrl:1
	;; [unrolled: 2-line block ×3, first 2 shown]
.Ltmp158:
	.loc	2 293 36                        ; standard.py:293:36 @[ attention_aot.py:316:19 ]
	v_mov_b32_e32 v3, v1
	s_nop 1
	v_mov_b32_dpp v3, v3 row_bcast:15 row_mask:0xa bank_mask:0xf bound_ctrl:1
.Ltmp159:
	.loc	2 263 15                        ; standard.py:263:15 @[ standard.py:293:36 @[ attention_aot.py:316:19 ] ]
	v_add_f32_e32 v1, v1, v3
	s_nop 1
	v_add_f32_dpp v1, v1, v1 row_bcast:31 row_mask:0xf bank_mask:0xf bound_ctrl:1
.Ltmp160:
	.loc	2 293 36                        ; standard.py:293:36 @[ attention_aot.py:316:19 ]
	s_nop 0
	v_readlane_b32 s26, v1, 63
	v_mov_b32_dpp v1, v72 row_shr:8 row_mask:0xf bank_mask:0xf bound_ctrl:1
.Ltmp161:
	.loc	2 263 15                        ; standard.py:263:15 @[ standard.py:293:36 @[ attention_aot.py:316:19 ] ]
	v_fma_mix_f32 v1, v30, v62, v1 op_sel_hi:[1,1,0]
	s_nop 1
	v_add_f32_dpp v1, v1, v1 row_shr:4 row_mask:0xf bank_mask:0xf bound_ctrl:1
	s_nop 1
	v_add_f32_dpp v1, v1, v1 row_shr:2 row_mask:0xf bank_mask:0xf bound_ctrl:1
	;; [unrolled: 2-line block ×3, first 2 shown]
.Ltmp162:
	.loc	2 293 36                        ; standard.py:293:36 @[ attention_aot.py:316:19 ]
	v_mov_b32_e32 v3, v1
	s_nop 1
	v_mov_b32_dpp v3, v3 row_bcast:15 row_mask:0xa bank_mask:0xf bound_ctrl:1
.Ltmp163:
	.loc	2 263 15                        ; standard.py:263:15 @[ standard.py:293:36 @[ attention_aot.py:316:19 ] ]
	v_add_f32_e32 v1, v1, v3
	s_nop 1
	v_add_f32_dpp v1, v1, v1 row_bcast:31 row_mask:0xf bank_mask:0xf bound_ctrl:1
.Ltmp164:
	.loc	2 293 36                        ; standard.py:293:36 @[ attention_aot.py:316:19 ]
	s_nop 0
	v_readlane_b32 s27, v1, 63
	v_mov_b32_dpp v1, v73 row_shr:8 row_mask:0xf bank_mask:0xf bound_ctrl:1
.Ltmp165:
	.loc	2 263 15                        ; standard.py:263:15 @[ standard.py:293:36 @[ attention_aot.py:316:19 ] ]
	v_fma_mix_f32 v1, v29, v60, v1 op_sel_hi:[1,1,0]
	s_nop 1
	v_add_f32_dpp v1, v1, v1 row_shr:4 row_mask:0xf bank_mask:0xf bound_ctrl:1
	s_nop 1
	v_add_f32_dpp v1, v1, v1 row_shr:2 row_mask:0xf bank_mask:0xf bound_ctrl:1
	;; [unrolled: 2-line block ×3, first 2 shown]
.Ltmp166:
	.loc	2 293 36                        ; standard.py:293:36 @[ attention_aot.py:316:19 ]
	v_mov_b32_e32 v3, v1
	s_nop 1
	v_mov_b32_dpp v3, v3 row_bcast:15 row_mask:0xa bank_mask:0xf bound_ctrl:1
.Ltmp167:
	.loc	2 263 15                        ; standard.py:263:15 @[ standard.py:293:36 @[ attention_aot.py:316:19 ] ]
	v_add_f32_e32 v1, v1, v3
	s_nop 1
	v_add_f32_dpp v1, v1, v1 row_bcast:31 row_mask:0xf bank_mask:0xf bound_ctrl:1
.Ltmp168:
	.loc	2 293 36                        ; standard.py:293:36 @[ attention_aot.py:316:19 ]
	s_nop 0
	v_readlane_b32 s28, v1, 63
	v_mov_b32_dpp v1, v74 row_shr:8 row_mask:0xf bank_mask:0xf bound_ctrl:1
.Ltmp169:
	.loc	2 263 15                        ; standard.py:263:15 @[ standard.py:293:36 @[ attention_aot.py:316:19 ] ]
	v_fma_mix_f32 v1, v32, v64, v1 op_sel_hi:[1,1,0]
	s_nop 1
	v_add_f32_dpp v1, v1, v1 row_shr:4 row_mask:0xf bank_mask:0xf bound_ctrl:1
	s_nop 1
	v_add_f32_dpp v1, v1, v1 row_shr:2 row_mask:0xf bank_mask:0xf bound_ctrl:1
	s_nop 1
	v_add_f32_dpp v1, v1, v1 row_shr:1 row_mask:0xf bank_mask:0xf bound_ctrl:1
.Ltmp170:
	.loc	2 293 36                        ; standard.py:293:36 @[ attention_aot.py:316:19 ]
	v_mov_b32_e32 v3, v1
	s_nop 1
	v_mov_b32_dpp v3, v3 row_bcast:15 row_mask:0xa bank_mask:0xf bound_ctrl:1
.Ltmp171:
	.loc	2 263 15                        ; standard.py:263:15 @[ standard.py:293:36 @[ attention_aot.py:316:19 ] ]
	v_add_f32_e32 v1, v1, v3
	s_nop 1
	v_add_f32_dpp v1, v1, v1 row_bcast:31 row_mask:0xf bank_mask:0xf bound_ctrl:1
.Ltmp172:
	.loc	2 293 36                        ; standard.py:293:36 @[ attention_aot.py:316:19 ]
	s_nop 0
	v_readlane_b32 s29, v1, 63
	v_mov_b32_dpp v1, v75 row_shr:8 row_mask:0xf bank_mask:0xf bound_ctrl:1
.Ltmp173:
	.loc	2 263 15                        ; standard.py:263:15 @[ standard.py:293:36 @[ attention_aot.py:316:19 ] ]
	v_fma_mix_f32 v1, v31, v63, v1 op_sel_hi:[1,1,0]
	s_nop 1
	v_add_f32_dpp v1, v1, v1 row_shr:4 row_mask:0xf bank_mask:0xf bound_ctrl:1
	s_nop 1
	v_add_f32_dpp v1, v1, v1 row_shr:2 row_mask:0xf bank_mask:0xf bound_ctrl:1
	;; [unrolled: 2-line block ×3, first 2 shown]
.Ltmp174:
	.loc	2 293 36                        ; standard.py:293:36 @[ attention_aot.py:316:19 ]
	v_mov_b32_e32 v3, v1
	s_nop 1
	v_mov_b32_dpp v3, v3 row_bcast:15 row_mask:0xa bank_mask:0xf bound_ctrl:1
.Ltmp175:
	.loc	2 263 15                        ; standard.py:263:15 @[ standard.py:293:36 @[ attention_aot.py:316:19 ] ]
	v_add_f32_e32 v1, v1, v3
	s_nop 1
	v_add_f32_dpp v1, v1, v1 row_bcast:31 row_mask:0xf bank_mask:0xf bound_ctrl:1
.Ltmp176:
	.loc	2 293 36                        ; standard.py:293:36 @[ attention_aot.py:316:19 ]
	s_nop 0
	v_readlane_b32 s30, v1, 63
	v_mov_b32_dpp v1, v76 row_shr:8 row_mask:0xf bank_mask:0xf bound_ctrl:1
.Ltmp177:
	.loc	2 263 15                        ; standard.py:263:15 @[ standard.py:293:36 @[ attention_aot.py:316:19 ] ]
	v_fma_mix_f32 v1, v34, v66, v1 op_sel_hi:[1,1,0]
	s_nop 1
	v_add_f32_dpp v1, v1, v1 row_shr:4 row_mask:0xf bank_mask:0xf bound_ctrl:1
	s_nop 1
	v_add_f32_dpp v1, v1, v1 row_shr:2 row_mask:0xf bank_mask:0xf bound_ctrl:1
	;; [unrolled: 2-line block ×3, first 2 shown]
.Ltmp178:
	.loc	2 293 36                        ; standard.py:293:36 @[ attention_aot.py:316:19 ]
	v_mov_b32_e32 v3, v1
	s_nop 1
	v_mov_b32_dpp v3, v3 row_bcast:15 row_mask:0xa bank_mask:0xf bound_ctrl:1
.Ltmp179:
	.loc	2 263 15                        ; standard.py:263:15 @[ standard.py:293:36 @[ attention_aot.py:316:19 ] ]
	v_add_f32_e32 v1, v1, v3
	s_nop 1
	v_add_f32_dpp v1, v1, v1 row_bcast:31 row_mask:0xf bank_mask:0xf bound_ctrl:1
.Ltmp180:
	.loc	2 293 36                        ; standard.py:293:36 @[ attention_aot.py:316:19 ]
	s_nop 0
	v_readlane_b32 s31, v1, 63
	v_mov_b32_dpp v1, v77 row_shr:8 row_mask:0xf bank_mask:0xf bound_ctrl:1
.Ltmp181:
	.loc	2 263 15                        ; standard.py:263:15 @[ standard.py:293:36 @[ attention_aot.py:316:19 ] ]
	v_fma_mix_f32 v1, v33, v65, v1 op_sel_hi:[1,1,0]
	s_nop 1
	v_add_f32_dpp v1, v1, v1 row_shr:4 row_mask:0xf bank_mask:0xf bound_ctrl:1
	s_nop 1
	v_add_f32_dpp v1, v1, v1 row_shr:2 row_mask:0xf bank_mask:0xf bound_ctrl:1
	s_nop 1
	v_add_f32_dpp v1, v1, v1 row_shr:1 row_mask:0xf bank_mask:0xf bound_ctrl:1
.Ltmp182:
	.loc	2 293 36                        ; standard.py:293:36 @[ attention_aot.py:316:19 ]
	v_mov_b32_e32 v3, v1
	s_nop 1
	v_mov_b32_dpp v3, v3 row_bcast:15 row_mask:0xa bank_mask:0xf bound_ctrl:1
.Ltmp183:
	.loc	2 263 15                        ; standard.py:263:15 @[ standard.py:293:36 @[ attention_aot.py:316:19 ] ]
	v_add_f32_e32 v1, v1, v3
	s_nop 1
	v_add_f32_dpp v1, v1, v1 row_bcast:31 row_mask:0xf bank_mask:0xf bound_ctrl:1
.Ltmp184:
	.loc	2 293 36                        ; standard.py:293:36 @[ attention_aot.py:316:19 ]
	s_nop 0
	v_readlane_b32 s33, v1, 63
.Ltmp185:
	.loc	1 318 45                        ; attention_aot.py:318:45
	v_mov_b32_e32 v1, s0
	ds_write_b128 v1, v[4:7]
	v_mov_b32_e32 v4, s5
	v_mov_b32_e32 v5, s6
	v_mov_b32_e32 v6, s7
	v_mov_b32_e32 v7, s8
	ds_write_b128 v1, v[4:7] offset:16
	v_mov_b32_e32 v4, s9
	v_mov_b32_e32 v5, s11
	v_mov_b32_e32 v6, s10
	v_mov_b32_e32 v7, s12
	ds_write_b128 v1, v[4:7] offset:32
	;; [unrolled: 5-line block ×5, first 2 shown]
	v_mov_b32_e32 v4, s25
	v_mov_b32_e32 v5, s26
	;; [unrolled: 1-line block ×4, first 2 shown]
	s_cselect_b64 s[0:1], -1, 0
	ds_write_b128 v1, v[4:7] offset:288
	v_mov_b32_e32 v4, s29
	v_mov_b32_e32 v5, s30
	;; [unrolled: 1-line block ×4, first 2 shown]
	s_and_b64 s[0:1], s[0:1], vcc
	ds_write_b128 v1, v[4:7] offset:304
	s_waitcnt lgkmcnt(0)
	s_barrier
	s_and_saveexec_b64 s[2:3], s[0:1]
	s_cbranch_execz .LBB0_117
; %bb.116:
	s_lshl_b32 s0, s4, 2
	v_lshlrev_b32_e32 v1, 6, v0
	s_and_b32 s0, s0, 0x100
	v_and_b32_e32 v1, 0xc0, v1
	s_add_i32 s0, s0, 0
	v_and_b32_e32 v0, 60, v0
	v_add3_u32 v0, s0, v1, v0
	v_readlane_b32 s0, v82, 5
	v_readlane_b32 s1, v82, 6
	.loc	1 318 21 is_stmt 0              ; attention_aot.py:318:21
	s_ashr_i32 s1, s0, 31
	.loc	1 318 45                        ; attention_aot.py:318:45
	ds_read_b32 v4, v0
	.loc	1 318 21                        ; attention_aot.py:318:21
	s_lshl_b64 s[0:1], s[0:1], 2
	v_readlane_b32 s2, v82, 0
	v_readlane_b32 s3, v82, 1
	s_add_u32 s0, s2, s0
	s_addc_u32 s1, s3, s1
	.loc	1 318 38                        ; attention_aot.py:318:38
	v_ashrrev_i32_e32 v3, 31, v2
	v_lshl_add_u64 v[0:1], v[2:3], 2, s[0:1]
	.loc	1 318 45                        ; attention_aot.py:318:45
	s_waitcnt lgkmcnt(0)
	global_store_dword v[0:1], v4, off
.LBB0_117:
	.loc	1 318 4                         ; attention_aot.py:318:4
	s_endpgm
.LBB0_118:
	.loc	1 312 39 is_stmt 1              ; attention_aot.py:312:39
	s_lshl_b64 s[2:3], s[82:83], 1
	s_add_u32 s2, s4, s2
	s_addc_u32 s3, s5, s3
	.loc	1 312 8 is_stmt 0               ; attention_aot.py:312:8
	global_load_ushort v45, v23, s[2:3]
	s_andn2_b64 vcc, exec, s[92:93]
	s_cbranch_vccnz .LBB0_102
.LBB0_119:
	.loc	1 312 39                        ; attention_aot.py:312:39
	s_lshl_b64 s[2:3], s[88:89], 1
	s_add_u32 s2, s4, s2
	s_addc_u32 s3, s5, s3
	.loc	1 312 8                         ; attention_aot.py:312:8
	global_load_ushort v44, v23, s[2:3]
	v_mov_b32_e32 v47, 0
	s_andn2_b64 vcc, exec, s[94:95]
	v_mov_b32_e32 v50, v47
	s_cbranch_vccnz .LBB0_103
.LBB0_120:
	.loc	1 312 39                        ; attention_aot.py:312:39
	s_lshl_b64 s[2:3], s[90:91], 1
	s_add_u32 s2, s4, s2
	s_addc_u32 s3, s5, s3
	.loc	1 312 8                         ; attention_aot.py:312:8
	global_load_ushort v50, v23, s[2:3]
	s_andn2_b64 vcc, exec, s[0:1]
	s_cbranch_vccnz .LBB0_104
.LBB0_121:
	.loc	1 312 39                        ; attention_aot.py:312:39
	s_lshl_b64 s[0:1], s[96:97], 1
	s_add_u32 s0, s4, s0
	s_addc_u32 s1, s5, s1
	.loc	1 312 8                         ; attention_aot.py:312:8
	global_load_ushort v47, v23, s[0:1]
	v_mov_b32_e32 v52, 0
	s_andn2_b64 vcc, exec, s[6:7]
	v_mov_b32_e32 v55, v52
	s_cbranch_vccnz .LBB0_105
.LBB0_122:
	.loc	1 312 39                        ; attention_aot.py:312:39
	s_lshl_b64 s[0:1], s[98:99], 1
	s_add_u32 s0, s4, s0
	s_addc_u32 s1, s5, s1
	.loc	1 312 8                         ; attention_aot.py:312:8
	global_load_ushort v55, v23, s[0:1]
	s_andn2_b64 vcc, exec, s[20:21]
	s_cbranch_vccnz .LBB0_106
.LBB0_123:
	.loc	1 312 39                        ; attention_aot.py:312:39
	s_lshl_b64 s[0:1], s[8:9], 1
	s_add_u32 s0, s4, s0
	s_addc_u32 s1, s5, s1
	.loc	1 312 8                         ; attention_aot.py:312:8
	global_load_ushort v52, v23, s[0:1]
	v_mov_b32_e32 v56, 0
	s_andn2_b64 vcc, exec, s[26:27]
	v_mov_b32_e32 v59, v56
	s_cbranch_vccnz .LBB0_107
.LBB0_124:
	.loc	1 312 39                        ; attention_aot.py:312:39
	s_lshl_b64 s[0:1], s[18:19], 1
	s_add_u32 s0, s4, s0
	s_addc_u32 s1, s5, s1
	.loc	1 312 8                         ; attention_aot.py:312:8
	global_load_ushort v59, v23, s[0:1]
	s_andn2_b64 vcc, exec, s[38:39]
	s_cbranch_vccnz .LBB0_108
.LBB0_125:
	.loc	1 312 39                        ; attention_aot.py:312:39
	s_lshl_b64 s[0:1], s[28:29], 1
	s_add_u32 s0, s4, s0
	s_addc_u32 s1, s5, s1
	.loc	1 312 8                         ; attention_aot.py:312:8
	global_load_ushort v56, v23, s[0:1]
	v_mov_b32_e32 v60, 0
	s_andn2_b64 vcc, exec, s[44:45]
	v_mov_b32_e32 v62, v60
	s_cbranch_vccnz .LBB0_109
.LBB0_126:
	.loc	1 312 39                        ; attention_aot.py:312:39
	s_lshl_b64 s[0:1], s[36:37], 1
	s_add_u32 s0, s4, s0
	s_addc_u32 s1, s5, s1
	.loc	1 312 8                         ; attention_aot.py:312:8
	global_load_ushort v62, v23, s[0:1]
	s_andn2_b64 vcc, exec, s[54:55]
	s_cbranch_vccnz .LBB0_110
.LBB0_127:
	.loc	1 312 39                        ; attention_aot.py:312:39
	s_lshl_b64 s[0:1], s[46:47], 1
	s_add_u32 s0, s4, s0
	s_addc_u32 s1, s5, s1
	.loc	1 312 8                         ; attention_aot.py:312:8
	global_load_ushort v60, v23, s[0:1]
	v_mov_b32_e32 v63, 0
	s_andn2_b64 vcc, exec, s[60:61]
	v_mov_b32_e32 v64, v63
	s_cbranch_vccnz .LBB0_111
.LBB0_128:
	.loc	1 312 39                        ; attention_aot.py:312:39
	s_lshl_b64 s[0:1], s[52:53], 1
	s_add_u32 s0, s4, s0
	s_addc_u32 s1, s5, s1
	.loc	1 312 8                         ; attention_aot.py:312:8
	global_load_ushort v64, v23, s[0:1]
	s_andn2_b64 vcc, exec, s[70:71]
	s_cbranch_vccnz .LBB0_112
.LBB0_129:
	.loc	1 312 39                        ; attention_aot.py:312:39
	s_lshl_b64 s[0:1], s[62:63], 1
	s_add_u32 s0, s4, s0
	s_addc_u32 s1, s5, s1
	.loc	1 312 8                         ; attention_aot.py:312:8
	global_load_ushort v63, v23, s[0:1]
	v_mov_b32_e32 v65, 0
	s_andn2_b64 vcc, exec, s[76:77]
	v_mov_b32_e32 v66, v65
	s_cbranch_vccnz .LBB0_113
.LBB0_130:
	.loc	1 312 39                        ; attention_aot.py:312:39
	s_lshl_b64 s[0:1], s[68:69], 1
	s_add_u32 s0, s4, s0
	s_addc_u32 s1, s5, s1
	.loc	1 312 8                         ; attention_aot.py:312:8
	global_load_ushort v66, v23, s[0:1]
	s_andn2_b64 vcc, exec, s[84:85]
	s_cbranch_vccz .LBB0_114
	s_branch .LBB0_115
.Ltmp186:
	.section	.rodata,"a",@progbits
	.p2align	6, 0x0
	.amdhsa_kernel _attn_bwd_preprocess
		.amdhsa_group_segment_fixed_size 0
		.amdhsa_private_segment_fixed_size 0
		.amdhsa_kernarg_size 56
		.amdhsa_user_sgpr_count 16
		.amdhsa_user_sgpr_dispatch_ptr 0
		.amdhsa_user_sgpr_queue_ptr 0
		.amdhsa_user_sgpr_kernarg_segment_ptr 1
		.amdhsa_user_sgpr_dispatch_id 0
		.amdhsa_user_sgpr_kernarg_preload_length 14
		.amdhsa_user_sgpr_kernarg_preload_offset 0
		.amdhsa_user_sgpr_private_segment_size 0
		.amdhsa_uses_dynamic_stack 0
		.amdhsa_enable_private_segment 0
		.amdhsa_system_sgpr_workgroup_id_x 1
		.amdhsa_system_sgpr_workgroup_id_y 1
		.amdhsa_system_sgpr_workgroup_id_z 0
		.amdhsa_system_sgpr_workgroup_info 0
		.amdhsa_system_vgpr_workitem_id 0
		.amdhsa_next_free_vgpr 83
		.amdhsa_next_free_sgpr 100
		.amdhsa_accum_offset 84
		.amdhsa_reserve_vcc 1
		.amdhsa_reserve_xnack_mask 1
		.amdhsa_float_round_mode_32 0
		.amdhsa_float_round_mode_16_64 0
		.amdhsa_float_denorm_mode_32 3
		.amdhsa_float_denorm_mode_16_64 3
		.amdhsa_dx10_clamp 1
		.amdhsa_ieee_mode 1
		.amdhsa_fp16_overflow 0
		.amdhsa_tg_split 0
		.amdhsa_exception_fp_ieee_invalid_op 0
		.amdhsa_exception_fp_denorm_src 0
		.amdhsa_exception_fp_ieee_div_zero 0
		.amdhsa_exception_fp_ieee_overflow 0
		.amdhsa_exception_fp_ieee_underflow 0
		.amdhsa_exception_fp_ieee_inexact 0
		.amdhsa_exception_int_div_zero 0
	.end_amdhsa_kernel
	.text
.Lfunc_end0:
	.size	_attn_bwd_preprocess, .Lfunc_end0-_attn_bwd_preprocess
	.cfi_endproc
                                        ; -- End function
	.set _attn_bwd_preprocess.num_vgpr, 83
	.set _attn_bwd_preprocess.num_agpr, 0
	.set _attn_bwd_preprocess.numbered_sgpr, 100
	.set _attn_bwd_preprocess.num_named_barrier, 0
	.set _attn_bwd_preprocess.private_seg_size, 0
	.set _attn_bwd_preprocess.uses_vcc, 1
	.set _attn_bwd_preprocess.uses_flat_scratch, 0
	.set _attn_bwd_preprocess.has_dyn_sized_stack, 0
	.set _attn_bwd_preprocess.has_recursion, 0
	.set _attn_bwd_preprocess.has_indirect_call, 0
	.section	.AMDGPU.csdata,"",@progbits
; Kernel info:
; codeLenInByte = 7656
; TotalNumSgprs: 106
; NumVgprs: 83
; NumAgprs: 0
; TotalNumVgprs: 83
; ScratchSize: 0
; MemoryBound: 0
; FloatMode: 240
; IeeeMode: 1
; LDSByteSize: 0 bytes/workgroup (compile time only)
; SGPRBlocks: 13
; VGPRBlocks: 10
; NumSGPRsForWavesPerEU: 106
; NumVGPRsForWavesPerEU: 83
; AccumOffset: 84
; Occupancy: 5
; WaveLimiterHint : 0
; COMPUTE_PGM_RSRC2:SCRATCH_EN: 0
; COMPUTE_PGM_RSRC2:USER_SGPR: 16
; COMPUTE_PGM_RSRC2:TRAP_HANDLER: 0
; COMPUTE_PGM_RSRC2:TGID_X_EN: 1
; COMPUTE_PGM_RSRC2:TGID_Y_EN: 1
; COMPUTE_PGM_RSRC2:TGID_Z_EN: 0
; COMPUTE_PGM_RSRC2:TIDIG_COMP_CNT: 0
; COMPUTE_PGM_RSRC3_GFX90A:ACCUM_OFFSET: 20
; COMPUTE_PGM_RSRC3_GFX90A:TG_SPLIT: 0
	.text
	.p2alignl 6, 3212836864
	.fill 256, 4, 3212836864
	.section	.AMDGPU.gpr_maximums,"",@progbits
	.set amdgpu.max_num_vgpr, 0
	.set amdgpu.max_num_agpr, 0
	.set amdgpu.max_num_sgpr, 0
	.set amdgpu.max_num_named_barrier, 0
	.text
	.section	.debug_abbrev,"",@progbits
	.byte	1                               ; Abbreviation Code
	.byte	17                              ; DW_TAG_compile_unit
	.byte	1                               ; DW_CHILDREN_yes
	.byte	37                              ; DW_AT_producer
	.byte	14                              ; DW_FORM_strp
	.byte	19                              ; DW_AT_language
	.byte	5                               ; DW_FORM_data2
	.byte	3                               ; DW_AT_name
	.byte	14                              ; DW_FORM_strp
	.byte	16                              ; DW_AT_stmt_list
	.byte	23                              ; DW_FORM_sec_offset
	.byte	27                              ; DW_AT_comp_dir
	.byte	14                              ; DW_FORM_strp
	.byte	17                              ; DW_AT_low_pc
	.byte	1                               ; DW_FORM_addr
	.byte	18                              ; DW_AT_high_pc
	.byte	6                               ; DW_FORM_data4
	.byte	0                               ; EOM(1)
	.byte	0                               ; EOM(2)
	.byte	2                               ; Abbreviation Code
	.byte	46                              ; DW_TAG_subprogram
	.byte	0                               ; DW_CHILDREN_no
	.byte	3                               ; DW_AT_name
	.byte	14                              ; DW_FORM_strp
	.byte	32                              ; DW_AT_inline
	.byte	11                              ; DW_FORM_data1
	.byte	0                               ; EOM(1)
	.byte	0                               ; EOM(2)
	.byte	3                               ; Abbreviation Code
	.byte	46                              ; DW_TAG_subprogram
	.byte	1                               ; DW_CHILDREN_yes
	.byte	17                              ; DW_AT_low_pc
	.byte	1                               ; DW_FORM_addr
	.byte	18                              ; DW_AT_high_pc
	.byte	6                               ; DW_FORM_data4
	.byte	49                              ; DW_AT_abstract_origin
	.byte	19                              ; DW_FORM_ref4
	.byte	0                               ; EOM(1)
	.byte	0                               ; EOM(2)
	.byte	4                               ; Abbreviation Code
	.byte	29                              ; DW_TAG_inlined_subroutine
	.byte	1                               ; DW_CHILDREN_yes
	.byte	49                              ; DW_AT_abstract_origin
	.byte	19                              ; DW_FORM_ref4
	.byte	85                              ; DW_AT_ranges
	.byte	23                              ; DW_FORM_sec_offset
	.byte	88                              ; DW_AT_call_file
	.byte	11                              ; DW_FORM_data1
	.byte	89                              ; DW_AT_call_line
	.byte	5                               ; DW_FORM_data2
	.byte	87                              ; DW_AT_call_column
	.byte	11                              ; DW_FORM_data1
	.byte	0                               ; EOM(1)
	.byte	0                               ; EOM(2)
	.byte	5                               ; Abbreviation Code
	.byte	29                              ; DW_TAG_inlined_subroutine
	.byte	0                               ; DW_CHILDREN_no
	.byte	49                              ; DW_AT_abstract_origin
	.byte	19                              ; DW_FORM_ref4
	.byte	85                              ; DW_AT_ranges
	.byte	23                              ; DW_FORM_sec_offset
	.byte	88                              ; DW_AT_call_file
	.byte	11                              ; DW_FORM_data1
	.byte	89                              ; DW_AT_call_line
	.byte	5                               ; DW_FORM_data2
	.byte	87                              ; DW_AT_call_column
	.byte	11                              ; DW_FORM_data1
	.byte	0                               ; EOM(1)
	.byte	0                               ; EOM(2)
	;; [unrolled: 1-line block ×3, first 2 shown]
	.section	.debug_info,"",@progbits
.Lcu_begin0:
	.long	.Ldebug_info_end0-.Ldebug_info_start0 ; Length of Unit
.Ldebug_info_start0:
	.short	4                               ; DWARF version number
	.long	.debug_abbrev                   ; Offset Into Abbrev. Section
	.byte	8                               ; Address Size (in bytes)
	.byte	1                               ; Abbrev [1] 0xb:0x53 DW_TAG_compile_unit
	.long	.Linfo_string0                  ; DW_AT_producer
	.short	2                               ; DW_AT_language
	.long	.Linfo_string1                  ; DW_AT_name
	.long	.Lline_table_start0             ; DW_AT_stmt_list
	.long	.Linfo_string2                  ; DW_AT_comp_dir
	.quad	.Lfunc_begin0                   ; DW_AT_low_pc
	.long	.Lfunc_end0-.Lfunc_begin0       ; DW_AT_high_pc
	.byte	2                               ; Abbrev [2] 0x2a:0x6 DW_TAG_subprogram
	.long	.Linfo_string3                  ; DW_AT_name
	.byte	1                               ; DW_AT_inline
	.byte	3                               ; Abbrev [3] 0x30:0x2d DW_TAG_subprogram
	.quad	.Lfunc_begin0                   ; DW_AT_low_pc
	.long	.Lfunc_end0-.Lfunc_begin0       ; DW_AT_high_pc
	.long	42                              ; DW_AT_abstract_origin
	.byte	4                               ; Abbrev [4] 0x41:0x1b DW_TAG_inlined_subroutine
	.long	42                              ; DW_AT_abstract_origin
	.long	.Ldebug_ranges0                 ; DW_AT_ranges
	.byte	1                               ; DW_AT_call_file
	.short	316                             ; DW_AT_call_line
	.byte	19                              ; DW_AT_call_column
	.byte	5                               ; Abbrev [5] 0x4e:0xd DW_TAG_inlined_subroutine
	.long	42                              ; DW_AT_abstract_origin
	.long	.Ldebug_ranges1                 ; DW_AT_ranges
	.byte	2                               ; DW_AT_call_file
	.short	293                             ; DW_AT_call_line
	.byte	36                              ; DW_AT_call_column
	.byte	0                               ; End Of Children Mark
	.byte	0                               ; End Of Children Mark
	;; [unrolled: 1-line block ×3, first 2 shown]
.Ldebug_info_end0:
	.section	.debug_ranges,"",@progbits
.Ldebug_ranges0:
	.quad	.Ltmp2-.Lfunc_begin0
	.quad	.Ltmp4-.Lfunc_begin0
	;; [unrolled: 1-line block ×56, first 2 shown]
	.quad	0
	.quad	0
.Ldebug_ranges1:
	.quad	.Ltmp3-.Lfunc_begin0
	.quad	.Ltmp4-.Lfunc_begin0
	;; [unrolled: 1-line block ×166, first 2 shown]
	.quad	0
	.quad	0
	.section	.debug_str,"MS",@progbits,1
.Linfo_string0:
	.asciz	"triton"                        ; string offset=0
.Linfo_string1:
	.asciz	"attention_aot.py"              ; string offset=7
.Linfo_string2:
	.asciz	"/root/src/amdgpu-assembly/repos/FlagOpen__FlagGems/triton_aot_kernels" ; string offset=24
.Linfo_string3:
	.asciz	"_attn_bwd_preprocess"          ; string offset=94
	.section	".note.GNU-stack","",@progbits
	.amdgpu_metadata
---
amdhsa.kernels:
  - .agpr_count:     0
    .args:
      - .address_space:  global
        .offset:         0
        .size:           8
        .value_kind:     global_buffer
      - .address_space:  global
        .offset:         8
        .size:           8
        .value_kind:     global_buffer
      - .address_space:  global
        .offset:         16
        .size:           8
        .value_kind:     global_buffer
      - .offset:         24
        .size:           4
        .value_kind:     by_value
      - .offset:         28
        .size:           4
        .value_kind:     by_value
      - .offset:         32
        .size:           4
        .value_kind:     by_value
      - .address_space:  global
        .offset:         40
        .size:           8
        .value_kind:     global_buffer
      - .address_space:  global
        .offset:         48
        .size:           8
        .value_kind:     global_buffer
    .group_segment_fixed_size: 0
    .kernarg_segment_align: 8
    .kernarg_segment_size: 56
    .max_flat_workgroup_size: 256
    .name:           _attn_bwd_preprocess
    .private_segment_fixed_size: 0
    .sgpr_count:     106
    .sgpr_spill_count: 43
    .symbol:         _attn_bwd_preprocess.kd
    .uniform_work_group_size: 1
    .uses_dynamic_stack: false
    .vgpr_count:     83
    .vgpr_spill_count: 0
    .wavefront_size: 64
amdhsa.target:   amdgcn-amd-amdhsa--gfx950
amdhsa.version:
  - 1
  - 2
...

	.end_amdgpu_metadata
	.section	.debug_line,"",@progbits
.Lline_table_start0:
